;; amdgpu-corpus repo=ROCm/rocFFT kind=compiled arch=gfx950 opt=O3
	.text
	.amdgcn_target "amdgcn-amd-amdhsa--gfx950"
	.amdhsa_code_object_version 6
	.protected	bluestein_single_back_len68_dim1_dp_op_CI_CI ; -- Begin function bluestein_single_back_len68_dim1_dp_op_CI_CI
	.globl	bluestein_single_back_len68_dim1_dp_op_CI_CI
	.p2align	8
	.type	bluestein_single_back_len68_dim1_dp_op_CI_CI,@function
bluestein_single_back_len68_dim1_dp_op_CI_CI: ; @bluestein_single_back_len68_dim1_dp_op_CI_CI
; %bb.0:
	s_load_dwordx4 s[8:11], s[0:1], 0x28
	v_mul_u32_u24_e32 v1, 0xf10, v0
	v_lshrrev_b32_e32 v2, 16, v1
	v_mad_u64_u32 v[132:133], s[2:3], s2, 15, v[2:3]
	v_mov_b32_e32 v133, 0
	s_waitcnt lgkmcnt(0)
	v_cmp_gt_u64_e32 vcc, s[8:9], v[132:133]
	s_and_saveexec_b64 s[2:3], vcc
	s_cbranch_execz .LBB0_15
; %bb.1:
	v_mul_lo_u16_e32 v1, 17, v2
	s_mov_b32 s2, 0x88888889
	v_sub_u16_e32 v133, v0, v1
	v_mul_hi_u32 v0, v132, s2
	v_lshrrev_b32_e32 v0, 3, v0
	v_mul_lo_u32 v0, v0, 15
	v_sub_u32_e32 v0, v132, v0
	v_mul_u32_u24_e32 v255, 0x44, v0
	v_or_b32_e32 v0, v255, v133
	v_lshlrev_b32_e32 v0, 4, v0
	v_accvgpr_write_b32 a15, v0
	v_or_b32_e32 v0, 4, v133
	v_accvgpr_write_b32 a14, v0
	v_or_b32_e32 v0, 8, v133
	;; [unrolled: 2-line block ×11, first 2 shown]
	s_load_dwordx2 s[8:9], s[0:1], 0x0
	s_load_dwordx2 s[12:13], s[0:1], 0x38
	v_accvgpr_write_b32 a4, v0
	v_or_b32_e32 v0, 48, v133
	v_accvgpr_write_b32 a3, v0
	v_or_b32_e32 v0, 52, v133
	;; [unrolled: 2-line block ×4, first 2 shown]
	v_cmp_gt_u16_e32 vcc, 4, v133
	v_lshlrev_b32_e32 v254, 4, v133
	v_accvgpr_write_b32 a0, v0
	s_and_saveexec_b64 s[2:3], vcc
	s_cbranch_execz .LBB0_3
; %bb.2:
	s_load_dwordx2 s[4:5], s[0:1], 0x18
	v_mov_b32_e32 v0, s10
	v_mov_b32_e32 v1, s11
	v_accvgpr_read_b32 v53, a14
	v_accvgpr_read_b32 v59, a12
	s_waitcnt lgkmcnt(0)
	s_load_dwordx4 s[4:7], s[4:5], 0x0
	v_accvgpr_read_b32 v55, a13
	v_accvgpr_read_b32 v61, a11
	;; [unrolled: 1-line block ×4, first 2 shown]
	s_waitcnt lgkmcnt(0)
	v_mad_u64_u32 v[2:3], s[10:11], s6, v132, 0
	v_mad_u64_u32 v[4:5], s[10:11], s4, v133, 0
	v_mov_b32_e32 v6, v3
	v_mov_b32_e32 v8, v5
	v_mad_u64_u32 v[6:7], s[6:7], s7, v132, v[6:7]
	v_mov_b32_e32 v3, v6
	v_mad_u64_u32 v[6:7], s[6:7], s5, v133, v[8:9]
	v_mov_b32_e32 v5, v6
	v_lshl_add_u64 v[80:81], v[2:3], 4, v[0:1]
	v_lshl_add_u64 v[36:37], v[4:5], 4, v[80:81]
	global_load_dwordx4 v[0:3], v[36:37], off
	global_load_dwordx4 v[4:7], v254, s[8:9]
	global_load_dwordx4 v[8:11], v254, s[8:9] offset:64
	global_load_dwordx4 v[12:15], v254, s[8:9] offset:128
	;; [unrolled: 1-line block ×7, first 2 shown]
	v_mad_u64_u32 v[36:37], s[6:7], s4, v53, 0
	v_mad_u64_u32 v[40:41], s[6:7], s4, v59, 0
	v_accvgpr_read_b32 v67, a8
	v_accvgpr_read_b32 v69, a7
	;; [unrolled: 1-line block ×3, first 2 shown]
	v_mad_u64_u32 v[38:39], s[6:7], s4, v55, 0
	v_mad_u64_u32 v[42:43], s[6:7], s4, v61, 0
	;; [unrolled: 1-line block ×7, first 2 shown]
	v_mov_b32_e32 v52, v37
	v_mov_b32_e32 v58, v41
	;; [unrolled: 1-line block ×9, first 2 shown]
	v_mad_u64_u32 v[52:53], s[6:7], s5, v53, v[52:53]
	v_mad_u64_u32 v[58:59], s[6:7], s5, v59, v[58:59]
	;; [unrolled: 1-line block ×9, first 2 shown]
	v_mov_b32_e32 v37, v52
	v_mov_b32_e32 v41, v58
	;; [unrolled: 1-line block ×9, first 2 shown]
	v_lshl_add_u64 v[58:59], v[36:37], 4, v[80:81]
	v_lshl_add_u64 v[40:41], v[40:41], 4, v[80:81]
	;; [unrolled: 1-line block ×8, first 2 shown]
	global_load_dwordx4 v[76:79], v[58:59], off
	global_load_dwordx4 v[72:75], v[64:65], off
	;; [unrolled: 1-line block ×7, first 2 shown]
	v_lshl_add_u64 v[86:87], v[56:57], 4, v[80:81]
	v_accvgpr_read_b32 v105, a2
	v_accvgpr_read_b32 v119, a1
	v_mad_u64_u32 v[116:117], s[6:7], s4, v119, 0
	v_mov_b32_e32 v118, v117
	s_waitcnt vmcnt(14)
	v_mul_f64 v[40:41], v[0:1], v[6:7]
	v_fma_f64 v[82:83], v[2:3], v[4:5], -v[40:41]
	global_load_dwordx4 v[48:51], v[84:85], off
	global_load_dwordx4 v[40:43], v[86:87], off
	global_load_dwordx4 v[56:59], v254, s[8:9] offset:512
	global_load_dwordx4 v[64:67], v254, s[8:9] offset:576
	v_accvgpr_read_b32 v87, a5
	v_mad_u64_u32 v[84:85], s[6:7], s4, v87, 0
	v_mov_b32_e32 v86, v85
	v_mad_u64_u32 v[86:87], s[6:7], s5, v87, v[86:87]
	v_mov_b32_e32 v85, v86
	v_accvgpr_read_b32 v87, a4
	v_lshl_add_u64 v[100:101], v[84:85], 4, v[80:81]
	v_mad_u64_u32 v[84:85], s[6:7], s4, v87, 0
	v_mov_b32_e32 v86, v85
	v_mad_u64_u32 v[86:87], s[6:7], s5, v87, v[86:87]
	v_mov_b32_e32 v85, v86
	v_lshl_add_u64 v[102:103], v[84:85], 4, v[80:81]
	global_load_dwordx4 v[88:91], v[100:101], off
	global_load_dwordx4 v[84:87], v[102:103], off
	global_load_dwordx4 v[92:95], v254, s[8:9] offset:640
	global_load_dwordx4 v[96:99], v254, s[8:9] offset:704
	v_accvgpr_read_b32 v103, a3
	v_mad_u64_u32 v[100:101], s[6:7], s4, v103, 0
	v_mov_b32_e32 v102, v101
	v_mad_u64_u32 v[102:103], s[6:7], s5, v103, v[102:103]
	v_mov_b32_e32 v101, v102
	v_mad_u64_u32 v[102:103], s[6:7], s4, v105, 0
	v_mov_b32_e32 v104, v103
	v_mad_u64_u32 v[104:105], s[6:7], s5, v105, v[104:105]
	v_mov_b32_e32 v103, v104
	v_mad_u64_u32 v[118:119], s[6:7], s5, v119, v[118:119]
	v_accvgpr_read_b32 v121, a0
	v_lshl_add_u64 v[100:101], v[100:101], 4, v[80:81]
	v_lshl_add_u64 v[104:105], v[102:103], 4, v[80:81]
	v_mov_b32_e32 v117, v118
	v_mad_u64_u32 v[118:119], s[6:7], s4, v121, 0
	global_load_dwordx4 v[100:103], v[100:101], off
	s_nop 0
	global_load_dwordx4 v[104:107], v[104:105], off
	s_nop 0
	global_load_dwordx4 v[108:111], v254, s[8:9] offset:768
	global_load_dwordx4 v[112:115], v254, s[8:9] offset:832
	v_mov_b32_e32 v120, v119
	v_mad_u64_u32 v[120:121], s[6:7], s5, v121, v[120:121]
	v_or_b32_e32 v137, 64, v133
	v_mov_b32_e32 v119, v120
	v_mad_u64_u32 v[134:135], s[6:7], s4, v137, 0
	v_lshl_add_u64 v[116:117], v[116:117], 4, v[80:81]
	v_lshl_add_u64 v[120:121], v[118:119], 4, v[80:81]
	v_mov_b32_e32 v136, v135
	global_load_dwordx4 v[116:119], v[116:117], off
	s_nop 0
	global_load_dwordx4 v[120:123], v[120:121], off
	s_nop 0
	global_load_dwordx4 v[124:127], v254, s[8:9] offset:896
	global_load_dwordx4 v[128:131], v254, s[8:9] offset:960
	v_mad_u64_u32 v[136:137], s[4:5], s5, v137, v[136:137]
	v_mov_b32_e32 v135, v136
	v_lshl_add_u64 v[80:81], v[134:135], 4, v[80:81]
	global_load_dwordx4 v[134:137], v[80:81], off
	global_load_dwordx4 v[138:141], v254, s[8:9] offset:1024
	v_mul_f64 v[80:81], v[2:3], v[6:7]
	v_fmac_f64_e32 v[80:81], v[0:1], v[4:5]
	s_waitcnt vmcnt(24)
	v_mul_f64 v[0:1], v[76:77], v[10:11]
	v_fma_f64 v[2:3], v[78:79], v[8:9], -v[0:1]
	v_mul_f64 v[0:1], v[78:79], v[10:11]
	s_waitcnt vmcnt(23)
	v_mul_f64 v[4:5], v[72:73], v[14:15]
	v_fmac_f64_e32 v[0:1], v[76:77], v[8:9]
	v_fma_f64 v[6:7], v[74:75], v[12:13], -v[4:5]
	v_mul_f64 v[4:5], v[74:75], v[14:15]
	s_waitcnt vmcnt(22)
	v_mul_f64 v[8:9], v[68:69], v[18:19]
	v_fmac_f64_e32 v[4:5], v[72:73], v[12:13]
	v_fma_f64 v[10:11], v[70:71], v[16:17], -v[8:9]
	v_mul_f64 v[8:9], v[70:71], v[18:19]
	v_accvgpr_read_b32 v12, a15
	v_lshl_add_u32 v76, v255, 4, v254
	v_fmac_f64_e32 v[8:9], v[68:69], v[16:17]
	ds_write_b128 v12, v[80:83]
	ds_write_b128 v76, v[0:3] offset:64
	ds_write_b128 v76, v[4:7] offset:128
	;; [unrolled: 1-line block ×3, first 2 shown]
	s_waitcnt vmcnt(21)
	v_mul_f64 v[0:1], v[60:61], v[22:23]
	v_fma_f64 v[2:3], v[62:63], v[20:21], -v[0:1]
	v_mul_f64 v[0:1], v[62:63], v[22:23]
	v_fmac_f64_e32 v[0:1], v[60:61], v[20:21]
	ds_write_b128 v76, v[0:3] offset:256
	s_waitcnt vmcnt(20)
	v_mul_f64 v[0:1], v[52:53], v[26:27]
	v_fma_f64 v[2:3], v[54:55], v[24:25], -v[0:1]
	v_mul_f64 v[0:1], v[54:55], v[26:27]
	v_fmac_f64_e32 v[0:1], v[52:53], v[24:25]
	ds_write_b128 v76, v[0:3] offset:320
	s_waitcnt vmcnt(19)
	v_mul_f64 v[0:1], v[46:47], v[30:31]
	v_mul_f64 v[2:3], v[44:45], v[30:31]
	v_fmac_f64_e32 v[0:1], v[44:45], v[28:29]
	v_fma_f64 v[2:3], v[46:47], v[28:29], -v[2:3]
	ds_write_b128 v76, v[0:3] offset:384
	s_waitcnt vmcnt(18)
	v_mul_f64 v[0:1], v[38:39], v[34:35]
	v_mul_f64 v[2:3], v[36:37], v[34:35]
	v_fmac_f64_e32 v[0:1], v[36:37], v[32:33]
	v_fma_f64 v[2:3], v[38:39], v[32:33], -v[2:3]
	ds_write_b128 v76, v[0:3] offset:448
	s_waitcnt vmcnt(15)
	v_mul_f64 v[0:1], v[48:49], v[58:59]
	v_fma_f64 v[2:3], v[50:51], v[56:57], -v[0:1]
	v_mul_f64 v[0:1], v[50:51], v[58:59]
	v_fmac_f64_e32 v[0:1], v[48:49], v[56:57]
	ds_write_b128 v76, v[0:3] offset:512
	s_waitcnt vmcnt(14)
	v_mul_f64 v[0:1], v[40:41], v[66:67]
	v_fma_f64 v[2:3], v[42:43], v[64:65], -v[0:1]
	v_mul_f64 v[0:1], v[42:43], v[66:67]
	v_fmac_f64_e32 v[0:1], v[40:41], v[64:65]
	ds_write_b128 v76, v[0:3] offset:576
	s_waitcnt vmcnt(11)
	v_mul_f64 v[0:1], v[90:91], v[94:95]
	v_mul_f64 v[2:3], v[88:89], v[94:95]
	v_fmac_f64_e32 v[0:1], v[88:89], v[92:93]
	v_fma_f64 v[2:3], v[90:91], v[92:93], -v[2:3]
	ds_write_b128 v76, v[0:3] offset:640
	s_waitcnt vmcnt(10)
	v_mul_f64 v[0:1], v[86:87], v[98:99]
	v_mul_f64 v[2:3], v[84:85], v[98:99]
	v_fmac_f64_e32 v[0:1], v[84:85], v[96:97]
	v_fma_f64 v[2:3], v[86:87], v[96:97], -v[2:3]
	;; [unrolled: 6-line block ×7, first 2 shown]
	ds_write_b128 v76, v[0:3] offset:1024
.LBB0_3:
	s_or_b64 exec, exec, s[2:3]
	s_load_dwordx2 s[2:3], s[0:1], 0x20
	s_load_dwordx2 s[4:5], s[0:1], 0x8
	v_lshlrev_b32_e32 v0, 4, v255
	v_accvgpr_write_b32 a16, v0
	s_waitcnt lgkmcnt(0)
	s_barrier
	s_waitcnt lgkmcnt(0)
                                        ; implicit-def: $vgpr50_vgpr51
                                        ; implicit-def: $vgpr46_vgpr47
                                        ; implicit-def: $vgpr38_vgpr39
                                        ; implicit-def: $vgpr34_vgpr35
                                        ; implicit-def: $vgpr30_vgpr31
                                        ; implicit-def: $vgpr26_vgpr27
                                        ; implicit-def: $vgpr22_vgpr23
                                        ; implicit-def: $vgpr18_vgpr19
                                        ; implicit-def: $vgpr14_vgpr15
                                        ; implicit-def: $vgpr6_vgpr7
                                        ; implicit-def: $vgpr74_vgpr75
                                        ; implicit-def: $vgpr52_vgpr53
                                        ; implicit-def: $vgpr60_vgpr61
                                        ; implicit-def: $vgpr64_vgpr65
                                        ; implicit-def: $vgpr68_vgpr69
                                        ; implicit-def: $vgpr8_vgpr9
                                        ; implicit-def: $vgpr0_vgpr1
	s_and_saveexec_b64 s[0:1], vcc
	s_cbranch_execz .LBB0_5
; %bb.4:
	v_accvgpr_read_b32 v0, a16
	v_lshl_add_u32 v40, v133, 4, v0
	ds_read_b128 v[0:3], v40 offset:64
	ds_read_b128 v[8:11], v40 offset:128
	;; [unrolled: 1-line block ×16, first 2 shown]
	v_accvgpr_read_b32 v40, a15
	ds_read_b128 v[72:75], v40
.LBB0_5:
	s_or_b64 exec, exec, s[0:1]
	s_mov_b32 s18, 0x5d8e7cdc
	s_waitcnt lgkmcnt(1)
	v_add_f64 v[104:105], v[2:3], -v[70:71]
	s_mov_b32 s19, 0xbfd71e95
	s_mov_b32 s0, 0x370991
	v_mul_f64 v[40:41], v[104:105], s[18:19]
	s_mov_b32 s50, 0x2a9d6da3
	v_add_f64 v[128:129], v[68:69], v[0:1]
	v_add_f64 v[106:107], v[0:1], -v[68:69]
	s_mov_b32 s1, 0x3fedd6d0
	v_accvgpr_write_b32 a18, v40
	s_mov_b32 s14, 0x75d4884
	s_mov_b32 s51, 0xbfe58eea
	v_add_f64 v[156:157], v[10:11], -v[66:67]
	v_add_f64 v[130:131], v[70:71], v[2:3]
	v_mul_f64 v[42:43], v[106:107], s[18:19]
	v_accvgpr_write_b32 a19, v41
	v_fma_f64 v[40:41], s[0:1], v[128:129], v[40:41]
	s_mov_b32 s15, 0x3fe7a5f6
	v_add_f64 v[146:147], v[64:65], v[8:9]
	v_add_f64 v[154:155], v[8:9], -v[64:65]
	v_mul_f64 v[120:121], v[156:157], s[50:51]
	s_waitcnt lgkmcnt(0)
	v_add_f64 v[58:59], v[72:73], v[40:41]
	v_accvgpr_write_b32 a20, v42
	v_fma_f64 v[40:41], v[130:131], s[0:1], -v[42:43]
	s_mov_b32 s48, 0x7c9e640b
	s_mov_b32 s26, 0xeb564b22
	v_add_f64 v[148:149], v[66:67], v[10:11]
	v_mul_f64 v[122:123], v[154:155], s[50:51]
	v_fma_f64 v[142:143], s[14:15], v[146:147], v[120:121]
	v_accvgpr_write_b32 a21, v43
	v_add_f64 v[40:41], v[74:75], v[40:41]
	v_mul_f64 v[42:43], v[104:105], s[50:51]
	s_mov_b32 s49, 0xbfeca52d
	s_mov_b32 s27, 0xbfefdd0d
	v_add_f64 v[58:59], v[142:143], v[58:59]
	v_fma_f64 v[142:143], v[148:149], s[14:15], -v[122:123]
	v_accvgpr_write_b32 a22, v42
	s_mov_b32 s6, 0x2b2883cd
	v_mul_f64 v[78:79], v[106:107], s[48:49]
	s_mov_b32 s10, 0x3259b75e
	s_mov_b32 s22, 0x6c9a05f6
	v_add_f64 v[158:159], v[142:143], v[40:41]
	v_mul_f64 v[40:41], v[156:157], s[26:27]
	v_mul_f64 v[56:57], v[106:107], s[50:51]
	v_accvgpr_write_b32 a23, v43
	v_fma_f64 v[42:43], s[14:15], v[128:129], v[42:43]
	s_mov_b32 s7, 0x3fdc86fa
	v_accvgpr_write_b32 a28, v78
	s_mov_b32 s11, 0x3fb79ee6
	s_mov_b32 s23, 0xbfe9895b
	;; [unrolled: 1-line block ×3, first 2 shown]
	v_accvgpr_write_b32 a34, v40
	v_add_f64 v[42:43], v[72:73], v[42:43]
	v_accvgpr_write_b32 a24, v56
	v_accvgpr_write_b32 a29, v79
	v_fma_f64 v[78:79], v[130:131], s[6:7], -v[78:79]
	s_mov_b32 s25, 0xbfe348c8
	s_mov_b32 s34, 0xacd6c6b4
	v_accvgpr_write_b32 a30, v120
	v_accvgpr_write_b32 a35, v41
	v_fma_f64 v[40:41], s[10:11], v[146:147], v[40:41]
	v_mul_f64 v[152:153], v[154:155], s[22:23]
	v_accvgpr_write_b32 a25, v57
	v_fma_f64 v[56:57], v[130:131], s[14:15], -v[56:57]
	v_mul_f64 v[76:77], v[104:105], s[48:49]
	v_add_f64 v[78:79], v[74:75], v[78:79]
	v_mul_f64 v[80:81], v[104:105], s[26:27]
	s_mov_b32 s35, 0xbfc7851a
	s_mov_b32 s36, 0x7faef3
	v_accvgpr_write_b32 a31, v121
	v_mul_f64 v[120:121], v[154:155], s[26:27]
	v_add_f64 v[166:167], v[40:41], v[42:43]
	v_fma_f64 v[42:43], v[148:149], s[24:25], -v[152:153]
	v_add_f64 v[56:57], v[74:75], v[56:57]
	v_accvgpr_write_b32 a26, v76
	v_fma_f64 v[82:83], v[128:129], s[10:11], -v[80:81]
	s_mov_b32 s37, 0xbfef7484
	v_fma_f64 v[40:41], v[148:149], s[10:11], -v[120:121]
	v_add_f64 v[42:43], v[42:43], v[78:79]
	v_mul_f64 v[78:79], v[156:157], s[34:35]
	v_accvgpr_write_b32 a27, v77
	v_fma_f64 v[76:77], s[6:7], v[128:129], v[76:77]
	v_add_f64 v[112:113], v[72:73], v[82:83]
	v_mul_f64 v[82:83], v[106:107], s[26:27]
	s_mov_b32 s20, 0x923c349f
	v_add_f64 v[168:169], v[40:41], v[56:57]
	v_mul_f64 v[150:151], v[156:157], s[22:23]
	v_fma_f64 v[56:57], v[146:147], s[36:37], -v[78:79]
	v_add_f64 v[76:77], v[72:73], v[76:77]
	v_fma_f64 v[84:85], s[10:11], v[130:131], v[82:83]
	v_fmac_f64_e32 v[80:81], s[10:11], v[128:129]
	s_mov_b32 s21, 0xbfeec746
	s_mov_b32 s16, 0xc61f0d01
	;; [unrolled: 1-line block ×3, first 2 shown]
	v_fma_f64 v[40:41], s[24:25], v[146:147], v[150:151]
	v_add_f64 v[56:57], v[56:57], v[112:113]
	v_mul_f64 v[112:113], v[154:155], s[34:35]
	v_add_f64 v[114:115], v[74:75], v[84:85]
	v_add_f64 v[116:117], v[72:73], v[80:81]
	v_fma_f64 v[80:81], v[130:131], s[10:11], -v[82:83]
	v_mul_f64 v[84:85], v[104:105], s[20:21]
	s_mov_b32 s17, 0xbfd183b1
	s_mov_b32 s29, 0xbfe0d888
	;; [unrolled: 1-line block ×3, first 2 shown]
	v_add_f64 v[40:41], v[40:41], v[76:77]
	v_fma_f64 v[76:77], s[36:37], v[148:149], v[112:113]
	s_mov_b32 s39, 0x3fe0d888
	s_mov_b32 s38, s28
	v_add_f64 v[118:119], v[74:75], v[80:81]
	v_fma_f64 v[80:81], v[128:129], s[16:17], -v[84:85]
	s_mov_b32 s31, 0xbfeb34fa
	v_add_f64 v[76:77], v[76:77], v[114:115]
	v_fmac_f64_e32 v[78:79], s[36:37], v[146:147]
	v_mul_f64 v[114:115], v[156:157], s[38:39]
	v_add_f64 v[80:81], v[72:73], v[80:81]
	v_mul_f64 v[86:87], v[106:107], s[20:21]
	v_fmac_f64_e32 v[84:85], s[16:17], v[128:129]
	v_add_f64 v[78:79], v[78:79], v[116:117]
	v_fma_f64 v[116:117], v[146:147], s[30:31], -v[114:115]
	v_fma_f64 v[82:83], s[16:17], v[130:131], v[86:87]
	v_add_f64 v[84:85], v[72:73], v[84:85]
	v_fma_f64 v[86:87], v[130:131], s[16:17], -v[86:87]
	v_add_f64 v[80:81], v[116:117], v[80:81]
	v_mul_f64 v[116:117], v[154:155], s[38:39]
	v_fmac_f64_e32 v[114:115], s[30:31], v[146:147]
	v_add_f64 v[86:87], v[74:75], v[86:87]
	v_mul_f64 v[92:93], v[104:105], s[22:23]
	v_add_f64 v[84:85], v[114:115], v[84:85]
	v_fma_f64 v[114:115], v[148:149], s[30:31], -v[116:117]
	s_mov_b32 s41, 0x3feec746
	s_mov_b32 s40, s20
	v_fma_f64 v[88:89], v[128:129], s[24:25], -v[92:93]
	v_fma_f64 v[112:113], v[148:149], s[36:37], -v[112:113]
	v_add_f64 v[86:87], v[114:115], v[86:87]
	v_mul_f64 v[114:115], v[156:157], s[40:41]
	v_add_f64 v[88:89], v[72:73], v[88:89]
	v_mul_f64 v[94:95], v[106:107], s[22:23]
	v_add_f64 v[112:113], v[112:113], v[118:119]
	v_fma_f64 v[118:119], s[30:31], v[148:149], v[116:117]
	v_fma_f64 v[116:117], v[146:147], s[16:17], -v[114:115]
	v_add_f64 v[82:83], v[74:75], v[82:83]
	v_fma_f64 v[90:91], s[24:25], v[130:131], v[94:95]
	v_fma_f64 v[94:95], v[130:131], s[24:25], -v[94:95]
	v_add_f64 v[116:117], v[116:117], v[88:89]
	v_mul_f64 v[88:89], v[154:155], s[40:41]
	v_add_f64 v[94:95], v[74:75], v[94:95]
	v_mul_f64 v[100:101], v[104:105], s[28:29]
	v_add_f64 v[82:83], v[118:119], v[82:83]
	v_fma_f64 v[118:119], s[16:17], v[148:149], v[88:89]
	v_fma_f64 v[88:89], v[148:149], s[16:17], -v[88:89]
	s_mov_b32 s43, 0x3feca52d
	s_mov_b32 s42, s48
	v_add_f64 v[90:91], v[74:75], v[90:91]
	v_fma_f64 v[96:97], v[128:129], s[30:31], -v[100:101]
	v_add_f64 v[94:95], v[88:89], v[94:95]
	v_mul_f64 v[88:89], v[156:157], s[42:43]
	v_add_f64 v[96:97], v[72:73], v[96:97]
	v_mul_f64 v[102:103], v[106:107], s[28:29]
	v_fmac_f64_e32 v[100:101], s[30:31], v[128:129]
	v_add_f64 v[118:119], v[118:119], v[90:91]
	v_fma_f64 v[90:91], v[146:147], s[6:7], -v[88:89]
	v_fma_f64 v[98:99], s[30:31], v[130:131], v[102:103]
	v_add_f64 v[100:101], v[72:73], v[100:101]
	v_fma_f64 v[102:103], v[130:131], s[30:31], -v[102:103]
	v_add_f64 v[96:97], v[90:91], v[96:97]
	v_mul_f64 v[90:91], v[154:155], s[42:43]
	v_fmac_f64_e32 v[88:89], s[6:7], v[146:147]
	v_fmac_f64_e32 v[92:93], s[24:25], v[128:129]
	v_add_f64 v[102:103], v[74:75], v[102:103]
	v_mul_f64 v[108:109], v[104:105], s[34:35]
	v_add_f64 v[100:101], v[88:89], v[100:101]
	v_fma_f64 v[88:89], v[148:149], s[6:7], -v[90:91]
	s_mov_b32 s45, 0x3fd71e95
	s_mov_b32 s44, s18
	v_add_f64 v[92:93], v[72:73], v[92:93]
	v_fma_f64 v[104:105], v[128:129], s[36:37], -v[108:109]
	v_fmac_f64_e32 v[114:115], s[16:17], v[146:147]
	v_add_f64 v[102:103], v[88:89], v[102:103]
	v_mul_f64 v[88:89], v[156:157], s[44:45]
	v_add_f64 v[104:105], v[72:73], v[104:105]
	v_mul_f64 v[110:111], v[106:107], s[34:35]
	v_fmac_f64_e32 v[108:109], s[36:37], v[128:129]
	v_add_f64 v[114:115], v[114:115], v[92:93]
	v_fma_f64 v[92:93], s[6:7], v[148:149], v[90:91]
	v_fma_f64 v[90:91], v[146:147], s[0:1], -v[88:89]
	v_fma_f64 v[106:107], s[36:37], v[130:131], v[110:111]
	v_add_f64 v[108:109], v[72:73], v[108:109]
	v_fma_f64 v[110:111], v[130:131], s[36:37], -v[110:111]
	v_add_f64 v[104:105], v[90:91], v[104:105]
	v_mul_f64 v[90:91], v[154:155], s[44:45]
	v_fmac_f64_e32 v[88:89], s[0:1], v[146:147]
	v_add_f64 v[172:173], v[6:7], -v[62:63]
	v_add_f64 v[110:111], v[74:75], v[110:111]
	v_add_f64 v[108:109], v[88:89], v[108:109]
	v_fma_f64 v[88:89], v[148:149], s[0:1], -v[90:91]
	v_add_f64 v[162:163], v[4:5], v[60:61]
	v_add_f64 v[170:171], v[4:5], -v[60:61]
	v_mul_f64 v[154:155], v[172:173], s[48:49]
	v_add_f64 v[110:111], v[88:89], v[110:111]
	v_add_f64 v[164:165], v[6:7], v[62:63]
	v_mul_f64 v[156:157], v[170:171], s[48:49]
	v_fma_f64 v[88:89], s[6:7], v[162:163], v[154:155]
	v_add_f64 v[58:59], v[88:89], v[58:59]
	v_fma_f64 v[88:89], v[164:165], s[6:7], -v[156:157]
	v_add_f64 v[98:99], v[74:75], v[98:99]
	v_add_f64 v[88:89], v[88:89], v[158:159]
	v_mul_f64 v[158:159], v[172:173], s[22:23]
	v_add_f64 v[106:107], v[74:75], v[106:107]
	v_add_f64 v[98:99], v[92:93], v[98:99]
	v_fma_f64 v[92:93], s[0:1], v[148:149], v[90:91]
	v_mul_f64 v[160:161], v[170:171], s[22:23]
	v_fma_f64 v[90:91], s[24:25], v[162:163], v[158:159]
	s_mov_b32 s57, 0x3fc7851a
	s_mov_b32 s56, s34
	v_add_f64 v[106:107], v[92:93], v[106:107]
	v_add_f64 v[90:91], v[90:91], v[166:167]
	v_fma_f64 v[92:93], v[164:165], s[24:25], -v[160:161]
	v_mul_f64 v[166:167], v[172:173], s[56:57]
	v_add_f64 v[92:93], v[92:93], v[168:169]
	v_mul_f64 v[168:169], v[170:171], s[56:57]
	v_fma_f64 v[174:175], s[36:37], v[162:163], v[166:167]
	v_add_f64 v[40:41], v[174:175], v[40:41]
	v_fma_f64 v[174:175], v[164:165], s[36:37], -v[168:169]
	v_add_f64 v[42:43], v[174:175], v[42:43]
	v_mul_f64 v[174:175], v[172:173], s[40:41]
	v_fma_f64 v[176:177], v[162:163], s[16:17], -v[174:175]
	v_add_f64 v[56:57], v[176:177], v[56:57]
	v_mul_f64 v[176:177], v[170:171], s[40:41]
	v_fmac_f64_e32 v[174:175], s[16:17], v[162:163]
	v_add_f64 v[78:79], v[174:175], v[78:79]
	v_fma_f64 v[174:175], v[164:165], s[16:17], -v[176:177]
	s_mov_b32 s47, 0x3fe58eea
	s_mov_b32 s46, s50
	v_add_f64 v[112:113], v[174:175], v[112:113]
	v_mul_f64 v[174:175], v[172:173], s[46:47]
	v_fma_f64 v[178:179], s[16:17], v[164:165], v[176:177]
	v_fma_f64 v[176:177], v[162:163], s[14:15], -v[174:175]
	v_add_f64 v[80:81], v[176:177], v[80:81]
	v_mul_f64 v[176:177], v[170:171], s[46:47]
	v_fmac_f64_e32 v[174:175], s[14:15], v[162:163]
	v_add_f64 v[84:85], v[174:175], v[84:85]
	v_fma_f64 v[174:175], v[164:165], s[14:15], -v[176:177]
	v_add_f64 v[86:87], v[174:175], v[86:87]
	v_mul_f64 v[174:175], v[172:173], s[18:19]
	v_add_f64 v[76:77], v[178:179], v[76:77]
	v_fma_f64 v[178:179], s[14:15], v[164:165], v[176:177]
	v_fma_f64 v[176:177], v[162:163], s[0:1], -v[174:175]
	v_add_f64 v[116:117], v[176:177], v[116:117]
	v_mul_f64 v[176:177], v[170:171], s[18:19]
	v_fmac_f64_e32 v[174:175], s[0:1], v[162:163]
	v_add_f64 v[114:115], v[174:175], v[114:115]
	v_fma_f64 v[174:175], v[164:165], s[0:1], -v[176:177]
	v_add_f64 v[94:95], v[174:175], v[94:95]
	v_mul_f64 v[174:175], v[172:173], s[26:27]
	v_add_f64 v[82:83], v[178:179], v[82:83]
	v_fma_f64 v[178:179], s[0:1], v[164:165], v[176:177]
	v_fma_f64 v[176:177], v[162:163], s[10:11], -v[174:175]
	v_add_f64 v[96:97], v[176:177], v[96:97]
	v_mul_f64 v[176:177], v[170:171], s[26:27]
	v_fmac_f64_e32 v[174:175], s[10:11], v[162:163]
	v_add_f64 v[100:101], v[174:175], v[100:101]
	v_fma_f64 v[174:175], v[164:165], s[10:11], -v[176:177]
	v_mul_f64 v[172:173], v[172:173], s[28:29]
	v_add_f64 v[102:103], v[174:175], v[102:103]
	v_fma_f64 v[174:175], v[162:163], s[30:31], -v[172:173]
	v_mul_f64 v[170:171], v[170:171], s[28:29]
	v_add_f64 v[118:119], v[178:179], v[118:119]
	v_fma_f64 v[178:179], s[10:11], v[164:165], v[176:177]
	v_add_f64 v[104:105], v[174:175], v[104:105]
	v_fma_f64 v[174:175], s[30:31], v[164:165], v[170:171]
	v_fma_f64 v[170:171], v[164:165], s[30:31], -v[170:171]
	v_add_f64 v[188:189], v[14:15], -v[54:55]
	v_add_f64 v[98:99], v[178:179], v[98:99]
	v_fmac_f64_e32 v[172:173], s[30:31], v[162:163]
	v_add_f64 v[110:111], v[170:171], v[110:111]
	v_add_f64 v[178:179], v[12:13], v[52:53]
	v_add_f64 v[186:187], v[12:13], -v[52:53]
	v_mul_f64 v[170:171], v[188:189], s[26:27]
	v_add_f64 v[106:107], v[174:175], v[106:107]
	v_add_f64 v[108:109], v[172:173], v[108:109]
	;; [unrolled: 1-line block ×3, first 2 shown]
	v_mul_f64 v[172:173], v[186:187], s[26:27]
	v_fma_f64 v[174:175], s[10:11], v[178:179], v[170:171]
	v_add_f64 v[58:59], v[174:175], v[58:59]
	v_fma_f64 v[174:175], v[180:181], s[10:11], -v[172:173]
	v_add_f64 v[88:89], v[174:175], v[88:89]
	v_mul_f64 v[174:175], v[188:189], s[34:35]
	v_mul_f64 v[176:177], v[186:187], s[34:35]
	v_fma_f64 v[182:183], s[36:37], v[178:179], v[174:175]
	v_add_f64 v[90:91], v[182:183], v[90:91]
	v_fma_f64 v[182:183], v[180:181], s[36:37], -v[176:177]
	v_add_f64 v[92:93], v[182:183], v[92:93]
	v_mul_f64 v[182:183], v[188:189], s[40:41]
	;; [unrolled: 6-line block ×3, first 2 shown]
	v_fma_f64 v[42:43], v[178:179], s[0:1], -v[40:41]
	v_add_f64 v[206:207], v[42:43], v[56:57]
	v_mul_f64 v[42:43], v[186:187], s[44:45]
	v_fmac_f64_e32 v[40:41], s[0:1], v[178:179]
	v_add_f64 v[78:79], v[40:41], v[78:79]
	v_fma_f64 v[40:41], v[180:181], s[0:1], -v[42:43]
	v_add_f64 v[112:113], v[40:41], v[112:113]
	v_mul_f64 v[40:41], v[188:189], s[48:49]
	v_fma_f64 v[56:57], s[0:1], v[180:181], v[42:43]
	v_fma_f64 v[42:43], v[178:179], s[6:7], -v[40:41]
	v_add_f64 v[80:81], v[42:43], v[80:81]
	v_mul_f64 v[42:43], v[186:187], s[48:49]
	v_fmac_f64_e32 v[40:41], s[6:7], v[178:179]
	v_add_f64 v[76:77], v[56:57], v[76:77]
	v_fma_f64 v[56:57], s[6:7], v[180:181], v[42:43]
	v_add_f64 v[84:85], v[40:41], v[84:85]
	v_fma_f64 v[40:41], v[180:181], s[6:7], -v[42:43]
	v_mul_f64 v[42:43], v[188:189], s[28:29]
	v_add_f64 v[82:83], v[56:57], v[82:83]
	v_add_f64 v[86:87], v[40:41], v[86:87]
	v_fma_f64 v[40:41], v[178:179], s[30:31], -v[42:43]
	v_mul_f64 v[56:57], v[186:187], s[28:29]
	v_add_f64 v[116:117], v[40:41], v[116:117]
	v_fma_f64 v[40:41], s[30:31], v[180:181], v[56:57]
	v_fma_f64 v[56:57], v[180:181], s[30:31], -v[56:57]
	s_mov_b32 s55, 0x3fe9895b
	s_mov_b32 s54, s22
	v_fmac_f64_e32 v[42:43], s[30:31], v[178:179]
	v_add_f64 v[56:57], v[56:57], v[94:95]
	v_mul_f64 v[94:95], v[188:189], s[54:55]
	v_add_f64 v[42:43], v[42:43], v[114:115]
	v_fma_f64 v[114:115], v[178:179], s[24:25], -v[94:95]
	v_add_f64 v[96:97], v[114:115], v[96:97]
	v_mul_f64 v[114:115], v[186:187], s[54:55]
	v_fmac_f64_e32 v[94:95], s[24:25], v[178:179]
	v_add_f64 v[94:95], v[94:95], v[100:101]
	v_fma_f64 v[100:101], v[180:181], s[24:25], -v[114:115]
	v_add_f64 v[100:101], v[100:101], v[102:103]
	v_mul_f64 v[102:103], v[188:189], s[46:47]
	v_add_f64 v[40:41], v[40:41], v[118:119]
	v_fma_f64 v[118:119], s[24:25], v[180:181], v[114:115]
	v_fma_f64 v[114:115], v[178:179], s[14:15], -v[102:103]
	v_add_f64 v[104:105], v[114:115], v[104:105]
	v_mul_f64 v[114:115], v[186:187], s[46:47]
	v_fmac_f64_e32 v[102:103], s[14:15], v[178:179]
	v_add_f64 v[102:103], v[102:103], v[108:109]
	v_fma_f64 v[108:109], v[180:181], s[14:15], -v[114:115]
	v_add_f64 v[108:109], v[108:109], v[110:111]
	v_add_f64 v[110:111], v[48:49], v[16:17]
	;; [unrolled: 1-line block ×3, first 2 shown]
	v_fma_f64 v[118:119], s[14:15], v[180:181], v[114:115]
	v_add_f64 v[114:115], v[16:17], -v[48:49]
	v_add_f64 v[196:197], v[18:19], -v[50:51]
	v_mul_f64 v[186:187], v[110:111], s[16:17]
	v_add_f64 v[106:107], v[118:119], v[106:107]
	v_add_f64 v[194:195], v[50:51], v[18:19]
	v_mul_f64 v[188:189], v[114:115], s[20:21]
	v_fma_f64 v[118:119], s[20:21], v[196:197], v[186:187]
	v_add_f64 v[58:59], v[118:119], v[58:59]
	v_fma_f64 v[118:119], v[194:195], s[16:17], -v[188:189]
	v_mul_f64 v[190:191], v[110:111], s[30:31]
	v_add_f64 v[88:89], v[118:119], v[88:89]
	v_mul_f64 v[192:193], v[114:115], s[38:39]
	v_fma_f64 v[118:119], s[38:39], v[196:197], v[190:191]
	v_add_f64 v[90:91], v[118:119], v[90:91]
	v_fma_f64 v[118:119], v[194:195], s[30:31], -v[192:193]
	v_mul_f64 v[198:199], v[110:111], s[14:15]
	v_add_f64 v[92:93], v[118:119], v[92:93]
	v_mul_f64 v[200:201], v[114:115], s[46:47]
	v_fma_f64 v[118:119], s[46:47], v[196:197], v[198:199]
	v_add_f64 v[118:119], v[118:119], v[202:203]
	v_fma_f64 v[202:203], v[194:195], s[14:15], -v[200:201]
	v_add_f64 v[218:219], v[202:203], v[204:205]
	v_mul_f64 v[202:203], v[110:111], s[6:7]
	v_fma_f64 v[204:205], s[42:43], v[196:197], v[202:203]
	v_add_f64 v[220:221], v[204:205], v[206:207]
	v_mul_f64 v[204:205], v[114:115], s[48:49]
	v_fmac_f64_e32 v[202:203], s[48:49], v[196:197]
	v_add_f64 v[78:79], v[202:203], v[78:79]
	v_fma_f64 v[202:203], v[194:195], s[6:7], -v[204:205]
	v_add_f64 v[112:113], v[202:203], v[112:113]
	v_mul_f64 v[202:203], v[110:111], s[36:37]
	v_fma_f64 v[206:207], s[6:7], v[194:195], v[204:205]
	v_fma_f64 v[204:205], s[56:57], v[196:197], v[202:203]
	v_add_f64 v[80:81], v[204:205], v[80:81]
	v_mul_f64 v[204:205], v[114:115], s[34:35]
	v_fmac_f64_e32 v[202:203], s[34:35], v[196:197]
	v_add_f64 v[84:85], v[202:203], v[84:85]
	v_fma_f64 v[202:203], v[194:195], s[36:37], -v[204:205]
	v_add_f64 v[86:87], v[202:203], v[86:87]
	v_mul_f64 v[202:203], v[110:111], s[10:11]
	v_add_f64 v[76:77], v[206:207], v[76:77]
	v_fma_f64 v[206:207], s[36:37], v[194:195], v[204:205]
	v_fma_f64 v[204:205], s[26:27], v[196:197], v[202:203]
	s_mov_b32 s53, 0x3fefdd0d
	s_mov_b32 s52, s26
	v_add_f64 v[116:117], v[204:205], v[116:117]
	v_mul_f64 v[204:205], v[114:115], s[52:53]
	v_fmac_f64_e32 v[202:203], s[52:53], v[196:197]
	v_add_f64 v[42:43], v[202:203], v[42:43]
	v_fma_f64 v[202:203], v[194:195], s[10:11], -v[204:205]
	v_add_f64 v[56:57], v[202:203], v[56:57]
	v_mul_f64 v[202:203], v[110:111], s[0:1]
	v_add_f64 v[82:83], v[206:207], v[82:83]
	v_fma_f64 v[206:207], s[10:11], v[194:195], v[204:205]
	v_fma_f64 v[204:205], s[44:45], v[196:197], v[202:203]
	v_add_f64 v[96:97], v[204:205], v[96:97]
	v_mul_f64 v[204:205], v[114:115], s[18:19]
	v_fmac_f64_e32 v[202:203], s[18:19], v[196:197]
	v_add_f64 v[94:95], v[202:203], v[94:95]
	v_fma_f64 v[202:203], v[194:195], s[0:1], -v[204:205]
	v_mul_f64 v[110:111], v[110:111], s[24:25]
	v_add_f64 v[100:101], v[202:203], v[100:101]
	v_fma_f64 v[202:203], s[54:55], v[196:197], v[110:111]
	v_mul_f64 v[114:115], v[114:115], s[22:23]
	v_fmac_f64_e32 v[110:111], s[22:23], v[196:197]
	v_add_f64 v[102:103], v[110:111], v[102:103]
	v_fma_f64 v[110:111], v[194:195], s[24:25], -v[114:115]
	v_add_f64 v[104:105], v[202:203], v[104:105]
	v_fma_f64 v[202:203], s[24:25], v[194:195], v[114:115]
	v_add_f64 v[108:109], v[110:111], v[108:109]
	v_add_f64 v[110:111], v[44:45], v[20:21]
	;; [unrolled: 1-line block ×3, first 2 shown]
	v_fma_f64 v[206:207], s[0:1], v[194:195], v[204:205]
	v_add_f64 v[106:107], v[202:203], v[106:107]
	v_add_f64 v[114:115], v[20:21], -v[44:45]
	v_add_f64 v[210:211], v[22:23], -v[46:47]
	v_mul_f64 v[202:203], v[110:111], s[24:25]
	v_add_f64 v[98:99], v[206:207], v[98:99]
	v_add_f64 v[208:209], v[46:47], v[22:23]
	v_mul_f64 v[204:205], v[114:115], s[22:23]
	v_fma_f64 v[206:207], s[22:23], v[210:211], v[202:203]
	v_add_f64 v[58:59], v[206:207], v[58:59]
	v_fma_f64 v[206:207], v[208:209], s[24:25], -v[204:205]
	v_add_f64 v[88:89], v[206:207], v[88:89]
	v_mul_f64 v[206:207], v[110:111], s[16:17]
	v_mul_f64 v[212:213], v[114:115], s[40:41]
	v_fma_f64 v[214:215], s[40:41], v[210:211], v[206:207]
	v_add_f64 v[90:91], v[214:215], v[90:91]
	v_fma_f64 v[214:215], v[208:209], s[16:17], -v[212:213]
	v_add_f64 v[92:93], v[214:215], v[92:93]
	v_mul_f64 v[214:215], v[110:111], s[0:1]
	;; [unrolled: 6-line block ×3, first 2 shown]
	v_fma_f64 v[222:223], s[38:39], v[210:211], v[218:219]
	v_add_f64 v[236:237], v[222:223], v[220:221]
	v_mul_f64 v[220:221], v[114:115], s[28:29]
	v_fma_f64 v[222:223], s[30:31], v[208:209], v[220:221]
	v_add_f64 v[238:239], v[222:223], v[76:77]
	v_fma_f64 v[76:77], v[208:209], s[30:31], -v[220:221]
	v_fmac_f64_e32 v[218:219], s[28:29], v[210:211]
	v_add_f64 v[112:113], v[76:77], v[112:113]
	v_mul_f64 v[76:77], v[110:111], s[10:11]
	v_add_f64 v[240:241], v[218:219], v[78:79]
	v_fma_f64 v[78:79], s[26:27], v[210:211], v[76:77]
	v_add_f64 v[242:243], v[78:79], v[80:81]
	v_mul_f64 v[78:79], v[114:115], s[52:53]
	v_fmac_f64_e32 v[76:77], s[52:53], v[210:211]
	v_add_f64 v[246:247], v[76:77], v[84:85]
	v_fma_f64 v[76:77], v[208:209], s[10:11], -v[78:79]
	v_add_f64 v[248:249], v[76:77], v[86:87]
	v_mul_f64 v[76:77], v[110:111], s[14:15]
	v_fma_f64 v[80:81], s[10:11], v[208:209], v[78:79]
	v_fma_f64 v[78:79], s[46:47], v[210:211], v[76:77]
	v_add_f64 v[116:117], v[78:79], v[116:117]
	v_mul_f64 v[78:79], v[114:115], s[50:51]
	v_fmac_f64_e32 v[76:77], s[50:51], v[210:211]
	v_add_f64 v[42:43], v[76:77], v[42:43]
	v_fma_f64 v[76:77], v[208:209], s[14:15], -v[78:79]
	v_add_f64 v[250:251], v[76:77], v[56:57]
	v_mul_f64 v[56:57], v[110:111], s[36:37]
	v_fma_f64 v[76:77], s[56:57], v[210:211], v[56:57]
	v_accvgpr_write_b32 a32, v122
	v_add_f64 v[252:253], v[76:77], v[96:97]
	v_mul_f64 v[76:77], v[114:115], s[34:35]
	v_fmac_f64_e32 v[56:57], s[34:35], v[210:211]
	v_accvgpr_write_b32 a33, v123
	v_add_f64 v[122:123], v[56:57], v[94:95]
	v_fma_f64 v[56:57], v[208:209], s[36:37], -v[76:77]
	v_add_f64 v[124:125], v[56:57], v[100:101]
	v_mul_f64 v[56:57], v[110:111], s[6:7]
	v_add_f64 v[244:245], v[80:81], v[82:83]
	v_fma_f64 v[80:81], s[14:15], v[208:209], v[78:79]
	v_fma_f64 v[78:79], s[36:37], v[208:209], v[76:77]
	;; [unrolled: 1-line block ×3, first 2 shown]
	v_fmac_f64_e32 v[56:57], s[42:43], v[210:211]
	v_add_f64 v[140:141], v[24:25], -v[36:37]
	v_accvgpr_write_b32 a36, v120
	v_add_f64 v[126:127], v[76:77], v[104:105]
	v_mul_f64 v[76:77], v[114:115], s[42:43]
	v_add_f64 v[134:135], v[56:57], v[102:103]
	v_add_f64 v[138:139], v[36:37], v[24:25]
	;; [unrolled: 1-line block ×3, first 2 shown]
	v_mul_f64 v[102:103], v[140:141], s[34:35]
	v_accvgpr_write_b32 a37, v121
	v_add_f64 v[40:41], v[80:81], v[40:41]
	v_add_f64 v[120:121], v[78:79], v[98:99]
	v_fma_f64 v[56:57], v[208:209], s[6:7], -v[76:77]
	v_add_f64 v[226:227], v[26:27], -v[38:39]
	v_mul_f64 v[218:219], v[138:139], s[30:31]
	v_fma_f64 v[98:99], s[36:37], v[224:225], v[102:103]
	v_add_f64 v[136:137], v[56:57], v[108:109]
	v_fma_f64 v[56:57], s[28:29], v[226:227], v[218:219]
	v_mul_f64 v[228:229], v[140:141], s[42:43]
	v_mul_f64 v[100:101], v[138:139], s[36:37]
	v_add_f64 v[98:99], v[98:99], v[40:41]
	v_fma_f64 v[40:41], v[224:225], s[36:37], -v[102:103]
	v_mul_f64 v[220:221], v[140:141], s[28:29]
	v_add_f64 v[142:143], v[56:57], v[58:59]
	v_fma_f64 v[58:59], v[224:225], s[6:7], -v[228:229]
	v_fma_f64 v[96:97], s[56:57], v[226:227], v[100:101]
	v_fmac_f64_e32 v[100:101], s[34:35], v[226:227]
	v_add_f64 v[102:103], v[40:41], v[250:251]
	v_mul_f64 v[40:41], v[138:139], s[14:15]
	v_fma_f64 v[56:57], v[224:225], s[30:31], -v[220:221]
	v_mul_f64 v[222:223], v[138:139], s[6:7]
	v_add_f64 v[58:59], v[58:59], v[92:93]
	v_mul_f64 v[84:85], v[138:139], s[24:25]
	v_mul_f64 v[92:93], v[138:139], s[0:1]
	v_add_f64 v[100:101], v[100:101], v[42:43]
	v_fma_f64 v[42:43], s[50:51], v[226:227], v[40:41]
	v_fma_f64 v[78:79], s[6:7], v[208:209], v[76:77]
	v_add_f64 v[144:145], v[56:57], v[88:89]
	v_fma_f64 v[56:57], s[42:43], v[226:227], v[222:223]
	v_fma_f64 v[80:81], s[22:23], v[226:227], v[84:85]
	v_mul_f64 v[86:87], v[140:141], s[54:55]
	v_fmac_f64_e32 v[84:85], s[54:55], v[226:227]
	v_fma_f64 v[88:89], s[44:45], v[226:227], v[92:93]
	v_mul_f64 v[94:95], v[140:141], s[18:19]
	v_add_f64 v[104:105], v[42:43], v[252:253]
	v_mul_f64 v[42:43], v[140:141], s[46:47]
	v_add_f64 v[252:253], v[32:33], v[28:29]
	v_add_f64 v[114:115], v[78:79], v[106:107]
	;; [unrolled: 1-line block ×3, first 2 shown]
	v_fma_f64 v[82:83], s[24:25], v[224:225], v[86:87]
	v_add_f64 v[84:85], v[84:85], v[240:241]
	v_add_f64 v[88:89], v[88:89], v[242:243]
	v_fma_f64 v[90:91], s[0:1], v[224:225], v[94:95]
	v_fma_f64 v[106:107], s[14:15], v[224:225], v[42:43]
	v_add_f64 v[250:251], v[28:29], -v[32:33]
	v_add_f64 v[240:241], v[30:31], -v[34:35]
	v_mul_f64 v[242:243], v[252:253], s[0:1]
	v_mul_f64 v[230:231], v[138:139], s[10:11]
	v_add_f64 v[82:83], v[82:83], v[238:239]
	v_add_f64 v[90:91], v[90:91], v[244:245]
	v_fmac_f64_e32 v[92:93], s[18:19], v[226:227]
	v_add_f64 v[106:107], v[106:107], v[120:121]
	v_add_f64 v[238:239], v[34:35], v[30:31]
	v_mul_f64 v[244:245], v[250:251], s[44:45]
	v_fma_f64 v[120:121], s[44:45], v[240:241], v[242:243]
	v_mul_f64 v[232:233], v[140:141], s[26:27]
	v_fma_f64 v[76:77], s[26:27], v[226:227], v[230:231]
	v_add_f64 v[92:93], v[92:93], v[246:247]
	v_fma_f64 v[94:95], v[224:225], s[0:1], -v[94:95]
	v_add_f64 v[56:57], v[120:121], v[56:57]
	v_fma_f64 v[120:121], v[238:239], s[0:1], -v[244:245]
	v_mul_f64 v[246:247], v[252:253], s[30:31]
	v_add_f64 v[76:77], v[76:77], v[118:119]
	v_fma_f64 v[78:79], v[224:225], s[10:11], -v[232:233]
	v_add_f64 v[94:95], v[94:95], v[248:249]
	v_add_f64 v[58:59], v[120:121], v[58:59]
	v_mul_f64 v[248:249], v[250:251], s[28:29]
	v_fma_f64 v[120:121], s[28:29], v[240:241], v[246:247]
	v_add_f64 v[78:79], v[78:79], v[234:235]
	v_add_f64 v[76:77], v[120:121], v[76:77]
	v_fma_f64 v[120:121], v[238:239], s[30:31], -v[248:249]
	v_fmac_f64_e32 v[40:41], s[46:47], v[226:227]
	v_add_f64 v[78:79], v[120:121], v[78:79]
	v_mul_f64 v[120:121], v[252:253], s[14:15]
	v_add_f64 v[80:81], v[80:81], v[236:237]
	v_add_f64 v[108:109], v[40:41], v[122:123]
	v_fma_f64 v[122:123], s[50:51], v[240:241], v[120:121]
	v_fma_f64 v[86:87], v[224:225], s[24:25], -v[86:87]
	v_add_f64 v[80:81], v[122:123], v[80:81]
	v_mul_f64 v[122:123], v[250:251], s[46:47]
	v_fmac_f64_e32 v[120:121], s[46:47], v[240:241]
	v_add_f64 v[86:87], v[86:87], v[112:113]
	v_add_f64 v[84:85], v[120:121], v[84:85]
	v_fma_f64 v[120:121], v[238:239], s[14:15], -v[122:123]
	v_fma_f64 v[40:41], v[224:225], s[14:15], -v[42:43]
	v_add_f64 v[86:87], v[120:121], v[86:87]
	v_mul_f64 v[120:121], v[252:253], s[24:25]
	v_add_f64 v[110:111], v[40:41], v[124:125]
	v_fma_f64 v[124:125], s[14:15], v[238:239], v[122:123]
	v_fma_f64 v[122:123], s[54:55], v[240:241], v[120:121]
	v_add_f64 v[88:89], v[122:123], v[88:89]
	v_mul_f64 v[122:123], v[250:251], s[22:23]
	v_fmac_f64_e32 v[120:121], s[22:23], v[240:241]
	v_add_f64 v[92:93], v[120:121], v[92:93]
	v_fma_f64 v[120:121], v[238:239], s[24:25], -v[122:123]
	v_add_f64 v[94:95], v[120:121], v[94:95]
	v_mul_f64 v[120:121], v[252:253], s[6:7]
	v_add_f64 v[96:97], v[96:97], v[116:117]
	v_add_f64 v[82:83], v[124:125], v[82:83]
	v_fma_f64 v[124:125], s[24:25], v[238:239], v[122:123]
	v_fma_f64 v[122:123], s[48:49], v[240:241], v[120:121]
	v_add_f64 v[96:97], v[122:123], v[96:97]
	v_mul_f64 v[122:123], v[250:251], s[42:43]
	v_fmac_f64_e32 v[120:121], s[42:43], v[240:241]
	v_add_f64 v[100:101], v[120:121], v[100:101]
	v_fma_f64 v[120:121], v[238:239], s[6:7], -v[122:123]
	v_add_f64 v[102:103], v[120:121], v[102:103]
	v_mul_f64 v[120:121], v[252:253], s[16:17]
	v_add_f64 v[90:91], v[124:125], v[90:91]
	v_fma_f64 v[124:125], s[6:7], v[238:239], v[122:123]
	v_fma_f64 v[122:123], s[40:41], v[240:241], v[120:121]
	v_mul_f64 v[40:41], v[138:139], s[16:17]
	v_add_f64 v[104:105], v[122:123], v[104:105]
	v_mul_f64 v[122:123], v[250:251], s[20:21]
	v_fmac_f64_e32 v[120:121], s[20:21], v[240:241]
	v_fma_f64 v[42:43], s[40:41], v[226:227], v[40:41]
	v_add_f64 v[108:109], v[120:121], v[108:109]
	v_fma_f64 v[120:121], v[238:239], s[16:17], -v[122:123]
	v_add_f64 v[112:113], v[42:43], v[126:127]
	v_mul_f64 v[42:43], v[140:141], s[20:21]
	v_add_f64 v[110:111], v[120:121], v[110:111]
	v_mul_f64 v[120:121], v[252:253], s[10:11]
	v_fma_f64 v[116:117], s[16:17], v[224:225], v[42:43]
	v_fmac_f64_e32 v[40:41], s[20:21], v[226:227]
	v_add_f64 v[98:99], v[124:125], v[98:99]
	v_fma_f64 v[124:125], s[16:17], v[238:239], v[122:123]
	v_fma_f64 v[122:123], s[26:27], v[240:241], v[120:121]
	v_add_f64 v[114:115], v[116:117], v[114:115]
	v_add_f64 v[116:117], v[40:41], v[134:135]
	v_fma_f64 v[40:41], v[224:225], s[16:17], -v[42:43]
	v_mul_f64 v[234:235], v[252:253], s[36:37]
	v_mul_f64 v[236:237], v[250:251], s[34:35]
	v_add_f64 v[112:113], v[122:123], v[112:113]
	v_mul_f64 v[122:123], v[250:251], s[52:53]
	v_fmac_f64_e32 v[120:121], s[52:53], v[240:241]
	v_add_f64 v[118:119], v[40:41], v[136:137]
	v_fma_f64 v[40:41], s[34:35], v[240:241], v[234:235]
	v_fma_f64 v[42:43], v[238:239], s[36:37], -v[236:237]
	v_add_f64 v[106:107], v[124:125], v[106:107]
	v_fma_f64 v[124:125], s[10:11], v[238:239], v[122:123]
	v_add_f64 v[116:117], v[120:121], v[116:117]
	v_fma_f64 v[120:121], v[238:239], s[10:11], -v[122:123]
	v_add_f64 v[40:41], v[40:41], v[142:143]
	v_add_f64 v[42:43], v[42:43], v[144:145]
	;; [unrolled: 1-line block ×4, first 2 shown]
	v_mul_lo_u16_e32 v250, 17, v133
	s_barrier
	s_and_saveexec_b64 s[48:49], vcc
	s_cbranch_execz .LBB0_7
; %bb.6:
	v_accvgpr_read_b32 v143, a29
	v_mul_f64 v[140:141], v[130:131], s[6:7]
	v_accvgpr_read_b32 v142, a28
	v_mul_f64 v[138:139], v[148:149], s[24:25]
	v_add_f64 v[140:141], v[142:143], v[140:141]
	v_mul_f64 v[136:137], v[164:165], s[36:37]
	v_add_f64 v[138:139], v[152:153], v[138:139]
	v_add_f64 v[140:141], v[74:75], v[140:141]
	v_mul_f64 v[134:135], v[180:181], s[16:17]
	v_add_f64 v[136:137], v[168:169], v[136:137]
	;; [unrolled: 3-line block ×4, first 2 shown]
	v_add_f64 v[134:135], v[134:135], v[136:137]
	v_mul_f64 v[136:137], v[130:131], s[0:1]
	v_add_f64 v[144:145], v[144:145], -v[166:167]
	v_mul_f64 v[152:153], v[146:147], s[24:25]
	v_mul_f64 v[166:167], v[130:131], s[14:15]
	v_accvgpr_read_b32 v131, a27
	v_add_f64 v[126:127], v[126:127], v[134:135]
	v_mul_f64 v[134:135], v[128:129], s[0:1]
	v_add_f64 v[150:151], v[152:153], -v[150:151]
	v_mul_f64 v[152:153], v[128:129], s[14:15]
	v_mul_f64 v[128:129], v[128:129], s[6:7]
	v_accvgpr_read_b32 v130, a26
	v_add_f64 v[128:129], v[128:129], -v[130:131]
	v_add_f64 v[128:129], v[72:73], v[128:129]
	v_add_f64 v[128:129], v[150:151], v[128:129]
	;; [unrolled: 1-line block ×3, first 2 shown]
	v_mul_f64 v[144:145], v[162:163], s[6:7]
	v_mul_f64 v[162:163], v[162:163], s[24:25]
	v_add_f64 v[158:159], v[162:163], -v[158:159]
	v_accvgpr_read_b32 v163, a35
	v_mul_f64 v[168:169], v[146:147], s[14:15]
	v_mul_f64 v[146:147], v[146:147], s[10:11]
	v_accvgpr_read_b32 v162, a34
	v_mul_f64 v[142:143], v[178:179], s[16:17]
	v_add_f64 v[146:147], v[146:147], -v[162:163]
	v_accvgpr_read_b32 v163, a23
	v_add_f64 v[142:143], v[142:143], -v[182:183]
	v_accvgpr_read_b32 v162, a22
	v_add_f64 v[128:129], v[142:143], v[128:129]
	v_mul_f64 v[142:143], v[164:165], s[6:7]
	v_mul_f64 v[164:165], v[164:165], s[24:25]
	v_add_f64 v[152:153], v[152:153], -v[162:163]
	v_add_f64 v[160:161], v[160:161], v[164:165]
	v_accvgpr_read_b32 v165, a37
	v_add_f64 v[152:153], v[72:73], v[152:153]
	v_mul_f64 v[150:151], v[148:149], s[14:15]
	v_mul_f64 v[148:149], v[148:149], s[10:11]
	v_accvgpr_read_b32 v164, a36
	v_add_f64 v[146:147], v[146:147], v[152:153]
	v_accvgpr_read_b32 v153, a33
	v_mul_f64 v[124:125], v[208:209], s[0:1]
	v_mul_f64 v[140:141], v[196:197], s[46:47]
	v_add_f64 v[148:149], v[164:165], v[148:149]
	v_accvgpr_read_b32 v165, a25
	v_accvgpr_read_b32 v152, a32
	v_mul_f64 v[122:123], v[224:225], s[10:11]
	v_add_f64 v[124:125], v[124:125], v[216:217]
	v_mul_f64 v[138:139], v[210:211], s[18:19]
	v_add_f64 v[140:141], v[198:199], -v[140:141]
	v_accvgpr_read_b32 v164, a24
	v_add_f64 v[150:151], v[152:153], v[150:151]
	v_accvgpr_read_b32 v153, a21
	v_mul_f64 v[120:121], v[238:239], s[30:31]
	v_add_f64 v[122:123], v[122:123], v[232:233]
	v_add_f64 v[124:125], v[124:125], v[126:127]
	v_mul_f64 v[126:127], v[226:227], s[26:27]
	v_add_f64 v[138:139], v[214:215], -v[138:139]
	v_add_f64 v[128:129], v[140:141], v[128:129]
	v_add_f64 v[164:165], v[164:165], v[166:167]
	v_accvgpr_read_b32 v152, a20
	v_add_f64 v[120:121], v[120:121], v[248:249]
	v_add_f64 v[122:123], v[122:123], v[124:125]
	v_mul_f64 v[124:125], v[240:241], s[28:29]
	v_add_f64 v[126:127], v[230:231], -v[126:127]
	v_mul_f64 v[140:141], v[178:179], s[10:11]
	v_add_f64 v[128:129], v[138:139], v[128:129]
	v_mul_f64 v[178:179], v[178:179], s[36:37]
	v_add_f64 v[164:165], v[74:75], v[164:165]
	v_add_f64 v[136:137], v[152:153], v[136:137]
	v_add_f64 v[2:3], v[74:75], v[2:3]
	v_add_f64 v[0:1], v[72:73], v[0:1]
	v_add_f64 v[124:125], v[246:247], -v[124:125]
	v_mul_f64 v[138:139], v[180:181], s[10:11]
	v_mul_f64 v[180:181], v[180:181], s[36:37]
	v_add_f64 v[126:127], v[126:127], v[128:129]
	v_add_f64 v[130:131], v[120:121], v[122:123]
	v_mul_f64 v[122:123], v[196:197], s[38:39]
	v_add_f64 v[148:149], v[148:149], v[164:165]
	v_add_f64 v[164:165], v[178:179], -v[174:175]
	v_add_f64 v[146:147], v[158:159], v[146:147]
	v_add_f64 v[136:137], v[74:75], v[136:137]
	;; [unrolled: 1-line block ×5, first 2 shown]
	v_mul_f64 v[124:125], v[194:195], s[30:31]
	v_mul_f64 v[200:201], v[210:211], s[40:41]
	v_add_f64 v[176:177], v[176:177], v[180:181]
	v_add_f64 v[148:149], v[160:161], v[148:149]
	v_add_f64 v[122:123], v[190:191], -v[122:123]
	v_add_f64 v[146:147], v[164:165], v[146:147]
	v_add_f64 v[142:143], v[156:157], v[142:143]
	;; [unrolled: 1-line block ×5, first 2 shown]
	v_mul_f64 v[182:183], v[196:197], s[20:21]
	v_mul_f64 v[120:121], v[194:195], s[16:17]
	;; [unrolled: 1-line block ×3, first 2 shown]
	v_add_f64 v[124:125], v[124:125], v[192:193]
	v_mul_f64 v[210:211], v[226:227], s[42:43]
	v_add_f64 v[148:149], v[176:177], v[148:149]
	v_add_f64 v[160:161], v[206:207], -v[200:201]
	v_add_f64 v[122:123], v[122:123], v[146:147]
	v_add_f64 v[138:139], v[172:173], v[138:139]
	;; [unrolled: 1-line block ×5, first 2 shown]
	v_mul_f64 v[198:199], v[208:209], s[24:25]
	v_add_f64 v[124:125], v[124:125], v[148:149]
	v_add_f64 v[148:149], v[222:223], -v[210:211]
	v_add_f64 v[122:123], v[160:161], v[122:123]
	v_add_f64 v[120:121], v[120:121], v[188:189]
	;; [unrolled: 1-line block ×5, first 2 shown]
	v_mul_f64 v[194:195], v[208:209], s[16:17]
	v_mul_f64 v[208:209], v[224:225], s[30:31]
	v_add_f64 v[122:123], v[148:149], v[122:123]
	v_add_f64 v[148:149], v[198:199], v[204:205]
	;; [unrolled: 1-line block ×7, first 2 shown]
	v_accvgpr_read_b32 v149, a19
	v_add_f64 v[2:3], v[26:27], v[2:3]
	v_add_f64 v[0:1], v[24:25], v[0:1]
	;; [unrolled: 1-line block ×3, first 2 shown]
	v_accvgpr_read_b32 v147, a31
	v_accvgpr_read_b32 v148, a18
	v_add_f64 v[2:3], v[30:31], v[2:3]
	v_add_f64 v[0:1], v[28:29], v[0:1]
	v_accvgpr_read_b32 v146, a30
	v_add_f64 v[134:135], v[134:135], -v[148:149]
	v_add_f64 v[2:3], v[34:35], v[2:3]
	v_add_f64 v[0:1], v[32:33], v[0:1]
	v_add_f64 v[146:147], v[168:169], -v[146:147]
	v_add_f64 v[134:135], v[72:73], v[134:135]
	v_add_f64 v[2:3], v[38:39], v[2:3]
	;; [unrolled: 1-line block ×3, first 2 shown]
	v_mul_f64 v[184:185], v[224:225], s[6:7]
	v_add_f64 v[194:195], v[194:195], v[212:213]
	v_add_f64 v[144:145], v[144:145], -v[154:155]
	v_add_f64 v[134:135], v[146:147], v[134:135]
	v_add_f64 v[2:3], v[46:47], v[2:3]
	v_add_f64 v[0:1], v[44:45], v[0:1]
	v_mul_f64 v[126:127], v[238:239], s[0:1]
	v_add_f64 v[184:185], v[184:185], v[228:229]
	v_add_f64 v[124:125], v[194:195], v[124:125]
	v_add_f64 v[140:141], v[140:141], -v[170:171]
	v_add_f64 v[134:135], v[144:145], v[134:135]
	v_add_f64 v[2:3], v[50:51], v[2:3]
	;; [unrolled: 1-line block ×4, first 2 shown]
	v_mul_f64 v[214:215], v[240:241], s[44:45]
	v_add_f64 v[124:125], v[184:185], v[124:125]
	v_add_f64 v[142:143], v[186:187], -v[182:183]
	v_add_f64 v[134:135], v[140:141], v[134:135]
	v_add_f64 v[2:3], v[54:55], v[2:3]
	;; [unrolled: 1-line block ×3, first 2 shown]
	v_mul_f64 v[192:193], v[226:227], s[28:29]
	v_mul_f64 v[212:213], v[238:239], s[36:37]
	v_add_f64 v[126:127], v[126:127], v[124:125]
	v_add_f64 v[124:125], v[242:243], -v[214:215]
	v_add_f64 v[138:139], v[202:203], -v[196:197]
	v_add_f64 v[134:135], v[142:143], v[134:135]
	v_add_f64 v[2:3], v[62:63], v[2:3]
	;; [unrolled: 1-line block ×3, first 2 shown]
	v_mul_f64 v[180:181], v[240:241], s[34:35]
	v_add_f64 v[124:125], v[124:125], v[122:123]
	v_add_f64 v[122:123], v[212:213], v[236:237]
	v_add_f64 v[136:137], v[218:219], -v[192:193]
	v_add_f64 v[134:135], v[138:139], v[134:135]
	v_add_f64 v[2:3], v[66:67], v[2:3]
	;; [unrolled: 1-line block ×4, first 2 shown]
	v_add_f64 v[120:121], v[234:235], -v[180:181]
	v_add_f64 v[134:135], v[136:137], v[134:135]
	v_add_f64 v[2:3], v[70:71], v[2:3]
	;; [unrolled: 1-line block ×3, first 2 shown]
	v_add_lshl_u32 v4, v255, v250, 4
	v_add_f64 v[120:121], v[120:121], v[134:135]
	ds_write_b128 v4, v[0:3]
	ds_write_b128 v4, v[120:123] offset:16
	ds_write_b128 v4, v[124:127] offset:32
	;; [unrolled: 1-line block ×16, first 2 shown]
.LBB0_7:
	s_or_b64 exec, exec, s[48:49]
	v_mad_u64_u32 v[12:13], s[4:5], v133, 48, s[4:5]
	s_load_dwordx4 s[0:3], s[2:3], 0x0
	s_waitcnt lgkmcnt(0)
	s_barrier
	global_load_dwordx4 v[8:11], v[12:13], off
	global_load_dwordx4 v[4:7], v[12:13], off offset:16
	global_load_dwordx4 v[0:3], v[12:13], off offset:32
	v_add_lshl_u32 v199, v255, v133, 4
	v_accvgpr_read_b32 v24, a16
	ds_read_b128 v[12:15], v199 offset:272
	ds_read_b128 v[16:19], v199
	ds_read_b128 v[20:23], v199 offset:544
	v_lshl_add_u32 v198, v133, 4, v24
	ds_read_b128 v[24:27], v199 offset:816
	s_waitcnt vmcnt(2) lgkmcnt(3)
	v_mul_f64 v[28:29], v[14:15], v[10:11]
	v_mul_f64 v[30:31], v[12:13], v[10:11]
	s_waitcnt vmcnt(1) lgkmcnt(1)
	v_mul_f64 v[32:33], v[22:23], v[6:7]
	v_mul_f64 v[34:35], v[20:21], v[6:7]
	;; [unrolled: 3-line block ×3, first 2 shown]
	v_fma_f64 v[12:13], v[12:13], v[8:9], -v[28:29]
	v_fmac_f64_e32 v[30:31], v[14:15], v[8:9]
	v_fma_f64 v[14:15], v[20:21], v[4:5], -v[32:33]
	v_fmac_f64_e32 v[34:35], v[22:23], v[4:5]
	;; [unrolled: 2-line block ×3, first 2 shown]
	v_add_f64 v[14:15], v[16:17], -v[14:15]
	v_add_f64 v[22:23], v[18:19], -v[34:35]
	;; [unrolled: 1-line block ×4, first 2 shown]
	v_fma_f64 v[28:29], v[16:17], 2.0, -v[14:15]
	v_fma_f64 v[32:33], v[18:19], 2.0, -v[22:23]
	;; [unrolled: 1-line block ×4, first 2 shown]
	v_add_f64 v[24:25], v[14:15], -v[24:25]
	v_add_f64 v[26:27], v[22:23], v[20:21]
	v_add_f64 v[16:17], v[28:29], -v[12:13]
	v_add_f64 v[18:19], v[32:33], -v[18:19]
	v_fma_f64 v[12:13], v[14:15], 2.0, -v[24:25]
	v_fma_f64 v[14:15], v[22:23], 2.0, -v[26:27]
	;; [unrolled: 1-line block ×4, first 2 shown]
	ds_write_b128 v198, v[24:27] offset:816
	ds_write_b128 v198, v[12:15] offset:272
	;; [unrolled: 1-line block ×3, first 2 shown]
	ds_write_b128 v198, v[20:23]
	s_waitcnt lgkmcnt(0)
	s_barrier
	s_and_saveexec_b64 s[4:5], vcc
	s_cbranch_execz .LBB0_9
; %bb.8:
	global_load_dwordx4 v[32:35], v254, s[8:9] offset:1088
	s_add_u32 s6, s8, 0x440
	s_addc_u32 s7, s9, 0
	global_load_dwordx4 v[28:31], v254, s[6:7] offset:64
	global_load_dwordx4 v[36:39], v254, s[6:7] offset:128
	;; [unrolled: 1-line block ×12, first 2 shown]
	v_accvgpr_read_b32 v158, a15
	ds_read_b128 v[134:137], v158
	global_load_dwordx4 v[138:141], v254, s[6:7] offset:832
	global_load_dwordx4 v[142:145], v254, s[6:7] offset:896
	;; [unrolled: 1-line block ×4, first 2 shown]
	s_waitcnt vmcnt(16) lgkmcnt(0)
	v_mul_f64 v[154:155], v[136:137], v[34:35]
	v_mul_f64 v[156:157], v[134:135], v[34:35]
	v_fma_f64 v[154:155], v[134:135], v[32:33], -v[154:155]
	v_fmac_f64_e32 v[156:157], v[136:137], v[32:33]
	ds_write_b128 v158, v[154:157]
	ds_read_b128 v[32:35], v198 offset:64
	ds_read_b128 v[134:137], v198 offset:128
	;; [unrolled: 1-line block ×12, first 2 shown]
	s_waitcnt vmcnt(15) lgkmcnt(11)
	v_mul_f64 v[194:195], v[34:35], v[30:31]
	v_mul_f64 v[196:197], v[32:33], v[30:31]
	s_waitcnt vmcnt(14) lgkmcnt(10)
	v_mul_f64 v[200:201], v[136:137], v[38:39]
	v_mul_f64 v[30:31], v[134:135], v[38:39]
	;; [unrolled: 3-line block ×11, first 2 shown]
	v_fma_f64 v[194:195], v[32:33], v[28:29], -v[194:195]
	v_fmac_f64_e32 v[196:197], v[34:35], v[28:29]
	v_fma_f64 v[28:29], v[134:135], v[36:37], -v[200:201]
	v_fmac_f64_e32 v[30:31], v[136:137], v[36:37]
	;; [unrolled: 2-line block ×11, first 2 shown]
	ds_write_b128 v198, v[194:197] offset:64
	ds_write_b128 v198, v[28:31] offset:128
	;; [unrolled: 1-line block ×11, first 2 shown]
	ds_read_b128 v[32:35], v198 offset:832
	s_waitcnt vmcnt(4) lgkmcnt(12)
	v_mul_f64 v[28:29], v[192:193], v[130:131]
	v_mul_f64 v[30:31], v[190:191], v[130:131]
	v_fma_f64 v[28:29], v[190:191], v[128:129], -v[28:29]
	v_fmac_f64_e32 v[30:31], v[192:193], v[128:129]
	ds_write_b128 v198, v[28:31] offset:768
	ds_read_b128 v[28:31], v198 offset:896
	s_waitcnt vmcnt(3) lgkmcnt(2)
	v_mul_f64 v[36:37], v[34:35], v[140:141]
	v_mul_f64 v[38:39], v[32:33], v[140:141]
	v_fma_f64 v[36:37], v[32:33], v[138:139], -v[36:37]
	v_fmac_f64_e32 v[38:39], v[34:35], v[138:139]
	ds_write_b128 v198, v[36:39] offset:832
	ds_read_b128 v[36:39], v198 offset:960
	s_waitcnt vmcnt(2) lgkmcnt(2)
	v_mul_f64 v[32:33], v[30:31], v[144:145]
	v_mul_f64 v[34:35], v[28:29], v[144:145]
	v_fma_f64 v[32:33], v[28:29], v[142:143], -v[32:33]
	v_fmac_f64_e32 v[34:35], v[30:31], v[142:143]
	ds_read_b128 v[28:31], v198 offset:1024
	ds_write_b128 v198, v[32:35] offset:896
	s_waitcnt vmcnt(1) lgkmcnt(2)
	v_mul_f64 v[32:33], v[38:39], v[148:149]
	v_mul_f64 v[34:35], v[36:37], v[148:149]
	v_fma_f64 v[32:33], v[36:37], v[146:147], -v[32:33]
	v_fmac_f64_e32 v[34:35], v[38:39], v[146:147]
	ds_write_b128 v198, v[32:35] offset:960
	s_waitcnt vmcnt(0) lgkmcnt(2)
	v_mul_f64 v[32:33], v[30:31], v[152:153]
	v_mul_f64 v[34:35], v[28:29], v[152:153]
	v_fma_f64 v[32:33], v[28:29], v[150:151], -v[32:33]
	v_fmac_f64_e32 v[34:35], v[30:31], v[150:151]
	ds_write_b128 v198, v[32:35] offset:1024
.LBB0_9:
	s_or_b64 exec, exec, s[4:5]
	s_waitcnt lgkmcnt(0)
	s_barrier
	s_and_saveexec_b64 s[4:5], vcc
	s_cbranch_execz .LBB0_11
; %bb.10:
	v_accvgpr_read_b32 v12, a15
	ds_read_b128 v[20:23], v12
	ds_read_b128 v[12:15], v198 offset:64
	ds_read_b128 v[16:19], v198 offset:128
	;; [unrolled: 1-line block ×16, first 2 shown]
.LBB0_11:
	s_or_b64 exec, exec, s[4:5]
	s_waitcnt lgkmcnt(0)
	s_barrier
	s_and_saveexec_b64 s[4:5], vcc
	s_cbranch_execz .LBB0_13
; %bb.12:
	s_mov_b32 s30, 0xacd6c6b4
	s_mov_b32 s44, 0x5d8e7cdc
	v_add_f64 v[180:181], v[12:13], -v[40:41]
	s_mov_b32 s31, 0xbfc7851a
	s_mov_b32 s24, 0x4363dd80
	v_add_f64 v[172:173], v[16:17], -v[56:57]
	s_mov_b32 s45, 0x3fd71e95
	s_mov_b32 s26, 0x370991
	v_mul_f64 v[64:65], v[180:181], s[30:31]
	v_add_f64 v[156:157], v[42:43], v[14:15]
	v_add_f64 v[196:197], v[14:15], -v[42:43]
	s_mov_b32 s50, 0x2a9d6da3
	v_add_f64 v[164:165], v[24:25], -v[76:77]
	s_mov_b32 s25, 0xbfe0d888
	s_mov_b32 s28, 0x910ea3b9
	v_mul_f64 v[60:61], v[172:173], s[44:45]
	v_add_f64 v[152:153], v[58:59], v[18:19]
	s_mov_b32 s27, 0x3fedd6d0
	v_fma_f64 v[66:67], s[36:37], v[156:157], v[64:65]
	v_add_f64 v[194:195], v[18:19], -v[58:59]
	v_add_f64 v[178:179], v[40:41], v[12:13]
	v_mul_f64 v[126:127], v[196:197], s[30:31]
	s_mov_b32 s18, 0x6c9a05f6
	v_add_f64 v[158:159], v[80:81], -v[84:85]
	s_mov_b32 s51, 0x3fe58eea
	s_mov_b32 s20, 0x75d4884
	v_mul_f64 v[52:53], v[164:165], s[24:25]
	v_add_f64 v[148:149], v[26:27], v[78:79]
	s_mov_b32 s29, 0xbfeb34fa
	v_fma_f64 v[62:63], s[26:27], v[152:153], v[60:61]
	v_add_f64 v[66:67], v[22:23], v[66:67]
	v_add_f64 v[192:193], v[26:27], -v[78:79]
	v_add_f64 v[176:177], v[56:57], v[16:17]
	v_mul_f64 v[122:123], v[194:195], s[44:45]
	v_fma_f64 v[128:129], v[178:179], s[36:37], -v[126:127]
	s_mov_b32 s34, 0x7c9e640b
	v_add_f64 v[154:155], v[88:89], -v[92:93]
	s_mov_b32 s19, 0xbfe9895b
	s_mov_b32 s22, 0x6ed5f1bb
	v_mul_f64 v[48:49], v[158:159], s[50:51]
	v_add_f64 v[144:145], v[82:83], v[86:87]
	s_mov_b32 s21, 0x3fe7a5f6
	v_fma_f64 v[54:55], s[28:29], v[148:149], v[52:53]
	v_add_f64 v[62:63], v[62:63], v[66:67]
	v_add_f64 v[190:191], v[82:83], -v[86:87]
	v_add_f64 v[174:175], v[24:25], v[76:77]
	v_mul_f64 v[74:75], v[192:193], s[24:25]
	v_fma_f64 v[124:125], v[176:177], s[26:27], -v[122:123]
	v_add_f64 v[128:129], v[20:21], v[128:129]
	s_mov_b32 s10, 0x923c349f
	v_add_f64 v[150:151], v[96:97], -v[100:101]
	s_mov_b32 s35, 0x3feca52d
	s_mov_b32 s14, 0x2b2883cd
	v_mul_f64 v[44:45], v[154:155], s[18:19]
	v_add_f64 v[140:141], v[94:95], v[90:91]
	s_mov_b32 s23, 0xbfe348c8
	v_fma_f64 v[50:51], s[20:21], v[144:145], v[48:49]
	v_add_f64 v[54:55], v[54:55], v[62:63]
	v_add_f64 v[188:189], v[92:93], v[88:89]
	;; [unrolled: 1-line block ×3, first 2 shown]
	v_mul_f64 v[70:71], v[190:191], s[50:51]
	v_fma_f64 v[120:121], v[174:175], s[28:29], -v[74:75]
	v_add_f64 v[124:125], v[124:125], v[128:129]
	s_mov_b32 s48, 0xeb564b22
	v_add_f64 v[146:147], v[104:105], -v[108:109]
	s_mov_b32 s11, 0xbfeec746
	v_mul_f64 v[36:37], v[150:151], s[34:35]
	v_add_f64 v[138:139], v[102:103], v[98:99]
	s_mov_b32 s15, 0x3fdc86fa
	v_fma_f64 v[46:47], s[22:23], v[140:141], v[44:45]
	v_add_f64 v[50:51], v[50:51], v[54:55]
	v_add_f64 v[186:187], v[100:101], v[96:97]
	v_mul_f64 v[66:67], v[188:189], s[22:23]
	v_add_f64 v[168:169], v[90:91], -v[94:95]
	s_mov_b32 s47, 0x3fe9895b
	s_mov_b32 s46, s18
	v_fma_f64 v[72:73], v[170:171], s[20:21], -v[70:71]
	v_add_f64 v[120:121], v[120:121], v[124:125]
	v_add_f64 v[142:143], v[112:113], -v[116:117]
	s_mov_b32 s49, 0x3fefdd0d
	s_mov_b32 s6, 0x3259b75e
	v_mul_f64 v[34:35], v[146:147], s[10:11]
	v_add_f64 v[136:137], v[110:111], v[106:107]
	v_fma_f64 v[38:39], s[14:15], v[138:139], v[36:37]
	v_add_f64 v[46:47], v[46:47], v[50:51]
	v_add_f64 v[184:185], v[108:109], v[104:105]
	v_mul_f64 v[54:55], v[186:187], s[14:15]
	v_add_f64 v[166:167], v[98:99], -v[102:103]
	s_mov_b32 s43, 0xbfeca52d
	s_mov_b32 s42, s34
	v_fma_f64 v[68:69], s[46:47], v[168:169], v[66:67]
	v_add_f64 v[72:73], v[72:73], v[120:121]
	v_mul_f64 v[32:33], v[142:143], s[48:49]
	v_add_f64 v[134:135], v[118:119], v[114:115]
	s_mov_b32 s7, 0x3fb79ee6
	v_fma_f64 v[30:31], s[16:17], v[136:137], v[34:35]
	v_add_f64 v[38:39], v[38:39], v[46:47]
	v_add_f64 v[182:183], v[116:117], v[112:113]
	v_mul_f64 v[46:47], v[184:185], s[16:17]
	v_add_f64 v[162:163], v[106:107], -v[110:111]
	s_mov_b32 s40, s10
	v_fma_f64 v[62:63], s[42:43], v[166:167], v[54:55]
	v_add_f64 v[68:69], v[68:69], v[72:73]
	v_fma_f64 v[28:29], s[6:7], v[134:135], v[32:33]
	v_add_f64 v[30:31], v[30:31], v[38:39]
	v_mul_f64 v[38:39], v[182:183], s[6:7]
	v_add_f64 v[160:161], v[114:115], -v[118:119]
	s_mov_b32 s39, 0xbfefdd0d
	s_mov_b32 s38, s48
	v_fma_f64 v[50:51], s[40:41], v[162:163], v[46:47]
	v_add_f64 v[62:63], v[62:63], v[68:69]
	v_add_f64 v[30:31], v[28:29], v[30:31]
	v_fma_f64 v[28:29], s[38:39], v[160:161], v[38:39]
	v_add_f64 v[50:51], v[50:51], v[62:63]
	v_add_f64 v[28:29], v[28:29], v[50:51]
	v_fma_f64 v[50:51], v[148:149], s[28:29], -v[52:53]
	v_fma_f64 v[52:53], v[152:153], s[26:27], -v[60:61]
	;; [unrolled: 1-line block ×3, first 2 shown]
	v_add_f64 v[60:61], v[22:23], v[60:61]
	v_add_f64 v[52:53], v[52:53], v[60:61]
	v_fma_f64 v[48:49], v[144:145], s[20:21], -v[48:49]
	v_add_f64 v[50:51], v[50:51], v[52:53]
	v_fma_f64 v[44:45], v[140:141], s[22:23], -v[44:45]
	;; [unrolled: 2-line block ×5, first 2 shown]
	v_add_f64 v[34:35], v[34:35], v[36:37]
	v_fmac_f64_e32 v[126:127], s[36:37], v[178:179]
	v_add_f64 v[34:35], v[32:33], v[34:35]
	v_fmac_f64_e32 v[122:123], s[26:27], v[176:177]
	;; [unrolled: 2-line block ×3, first 2 shown]
	v_add_f64 v[32:33], v[122:123], v[32:33]
	v_mul_f64 v[72:73], v[180:181], s[24:25]
	v_fmac_f64_e32 v[70:71], s[20:21], v[170:171]
	v_add_f64 v[32:33], v[74:75], v[32:33]
	v_mul_f64 v[68:69], v[172:173], s[34:35]
	v_fma_f64 v[74:75], s[28:29], v[156:157], v[72:73]
	v_mul_f64 v[202:203], v[196:197], s[24:25]
	v_fmac_f64_e32 v[66:67], s[18:19], v[168:169]
	v_add_f64 v[32:33], v[70:71], v[32:33]
	v_mul_f64 v[64:65], v[164:165], s[38:39]
	v_fma_f64 v[70:71], s[14:15], v[152:153], v[68:69]
	v_add_f64 v[74:75], v[22:23], v[74:75]
	v_mul_f64 v[130:131], v[194:195], s[34:35]
	v_fma_f64 v[204:205], v[178:179], s[28:29], -v[202:203]
	v_add_f64 v[32:33], v[66:67], v[32:33]
	s_mov_b32 s53, 0xbfd71e95
	s_mov_b32 s52, s44
	v_mul_f64 v[60:61], v[158:159], s[46:47]
	v_fma_f64 v[66:67], s[6:7], v[148:149], v[64:65]
	v_add_f64 v[70:71], v[70:71], v[74:75]
	v_mul_f64 v[126:127], v[192:193], s[38:39]
	v_fma_f64 v[200:201], v[176:177], s[14:15], -v[130:131]
	v_add_f64 v[204:205], v[20:21], v[204:205]
	v_fmac_f64_e32 v[54:55], s[34:35], v[166:167]
	v_mul_f64 v[52:53], v[154:155], s[52:53]
	v_fma_f64 v[62:63], s[22:23], v[144:145], v[60:61]
	v_add_f64 v[66:67], v[66:67], v[70:71]
	v_mul_f64 v[122:123], v[190:191], s[46:47]
	v_fma_f64 v[128:129], v[174:175], s[6:7], -v[126:127]
	v_add_f64 v[200:201], v[200:201], v[204:205]
	v_fmac_f64_e32 v[46:47], s[10:11], v[162:163]
	v_add_f64 v[32:33], v[54:55], v[32:33]
	v_mul_f64 v[48:49], v[150:151], s[30:31]
	v_fma_f64 v[54:55], s[26:27], v[140:141], v[52:53]
	v_add_f64 v[62:63], v[62:63], v[66:67]
	v_mul_f64 v[74:75], v[188:189], s[26:27]
	v_fma_f64 v[124:125], v[170:171], s[22:23], -v[122:123]
	v_add_f64 v[128:129], v[128:129], v[200:201]
	v_fmac_f64_e32 v[38:39], s[48:49], v[160:161]
	v_add_f64 v[32:33], v[46:47], v[32:33]
	v_mul_f64 v[46:47], v[146:147], s[50:51]
	v_fma_f64 v[50:51], s[36:37], v[138:139], v[48:49]
	v_add_f64 v[54:55], v[54:55], v[62:63]
	v_mul_f64 v[66:67], v[186:187], s[36:37]
	s_mov_b32 s56, s30
	v_fma_f64 v[120:121], s[44:45], v[168:169], v[74:75]
	v_add_f64 v[124:125], v[124:125], v[128:129]
	v_add_f64 v[32:33], v[38:39], v[32:33]
	v_mul_f64 v[44:45], v[142:143], s[10:11]
	v_fma_f64 v[38:39], s[20:21], v[136:137], v[46:47]
	v_add_f64 v[50:51], v[50:51], v[54:55]
	v_mul_f64 v[54:55], v[184:185], s[20:21]
	s_mov_b32 s55, 0xbfe58eea
	s_mov_b32 s54, s50
	v_fma_f64 v[70:71], s[56:57], v[166:167], v[66:67]
	v_add_f64 v[120:121], v[120:121], v[124:125]
	v_fma_f64 v[36:37], s[16:17], v[134:135], v[44:45]
	v_add_f64 v[38:39], v[38:39], v[50:51]
	v_mul_f64 v[50:51], v[182:183], s[16:17]
	v_fma_f64 v[62:63], s[54:55], v[162:163], v[54:55]
	v_add_f64 v[70:71], v[70:71], v[120:121]
	v_add_f64 v[38:39], v[36:37], v[38:39]
	v_fma_f64 v[36:37], s[40:41], v[160:161], v[50:51]
	v_add_f64 v[62:63], v[62:63], v[70:71]
	v_add_f64 v[36:37], v[36:37], v[62:63]
	v_fma_f64 v[62:63], v[148:149], s[6:7], -v[64:65]
	v_fma_f64 v[64:65], v[152:153], s[14:15], -v[68:69]
	;; [unrolled: 1-line block ×3, first 2 shown]
	v_add_f64 v[68:69], v[22:23], v[68:69]
	v_add_f64 v[64:65], v[64:65], v[68:69]
	v_fma_f64 v[60:61], v[144:145], s[22:23], -v[60:61]
	v_add_f64 v[62:63], v[62:63], v[64:65]
	v_fma_f64 v[52:53], v[140:141], s[26:27], -v[52:53]
	;; [unrolled: 2-line block ×5, first 2 shown]
	v_add_f64 v[46:47], v[46:47], v[48:49]
	v_fmac_f64_e32 v[202:203], s[28:29], v[178:179]
	v_add_f64 v[46:47], v[44:45], v[46:47]
	v_fmac_f64_e32 v[130:131], s[14:15], v[176:177]
	;; [unrolled: 2-line block ×3, first 2 shown]
	v_add_f64 v[44:45], v[130:131], v[44:45]
	v_mul_f64 v[124:125], v[180:181], s[18:19]
	v_fmac_f64_e32 v[122:123], s[22:23], v[170:171]
	v_add_f64 v[44:45], v[126:127], v[44:45]
	v_mul_f64 v[120:121], v[172:173], s[40:41]
	v_fma_f64 v[126:127], s[22:23], v[156:157], v[124:125]
	v_mul_f64 v[210:211], v[196:197], s[18:19]
	v_fmac_f64_e32 v[74:75], s[52:53], v[168:169]
	v_add_f64 v[44:45], v[122:123], v[44:45]
	v_mul_f64 v[72:73], v[164:165], s[52:53]
	v_fma_f64 v[122:123], s[16:17], v[152:153], v[120:121]
	v_add_f64 v[126:127], v[22:23], v[126:127]
	v_mul_f64 v[206:207], v[194:195], s[40:41]
	v_fma_f64 v[212:213], v[178:179], s[22:23], -v[210:211]
	v_add_f64 v[44:45], v[74:75], v[44:45]
	v_mul_f64 v[68:69], v[158:159], s[24:25]
	v_fma_f64 v[74:75], s[26:27], v[148:149], v[72:73]
	v_add_f64 v[122:123], v[122:123], v[126:127]
	v_mul_f64 v[202:203], v[192:193], s[52:53]
	v_fma_f64 v[208:209], v[176:177], s[16:17], -v[206:207]
	v_add_f64 v[212:213], v[20:21], v[212:213]
	v_fmac_f64_e32 v[66:67], s[30:31], v[166:167]
	v_mul_f64 v[64:65], v[154:155], s[48:49]
	v_fma_f64 v[70:71], s[28:29], v[144:145], v[68:69]
	v_add_f64 v[74:75], v[74:75], v[122:123]
	v_mul_f64 v[130:131], v[190:191], s[24:25]
	v_fma_f64 v[204:205], v[174:175], s[26:27], -v[202:203]
	v_add_f64 v[208:209], v[208:209], v[212:213]
	v_fmac_f64_e32 v[54:55], s[50:51], v[162:163]
	v_add_f64 v[44:45], v[66:67], v[44:45]
	v_mul_f64 v[60:61], v[150:151], s[54:55]
	v_fma_f64 v[66:67], s[6:7], v[140:141], v[64:65]
	v_add_f64 v[70:71], v[70:71], v[74:75]
	v_mul_f64 v[126:127], v[188:189], s[6:7]
	v_fma_f64 v[200:201], v[170:171], s[28:29], -v[130:131]
	v_add_f64 v[204:205], v[204:205], v[208:209]
	v_fmac_f64_e32 v[50:51], s[10:11], v[160:161]
	v_add_f64 v[44:45], v[54:55], v[44:45]
	v_mul_f64 v[54:55], v[146:147], s[30:31]
	v_fma_f64 v[62:63], s[20:21], v[138:139], v[60:61]
	v_add_f64 v[66:67], v[66:67], v[70:71]
	v_mul_f64 v[74:75], v[186:187], s[20:21]
	v_fma_f64 v[128:129], s[38:39], v[168:169], v[126:127]
	v_add_f64 v[200:201], v[200:201], v[204:205]
	v_add_f64 v[44:45], v[50:51], v[44:45]
	v_mul_f64 v[52:53], v[142:143], s[34:35]
	v_fma_f64 v[50:51], s[36:37], v[136:137], v[54:55]
	v_add_f64 v[62:63], v[62:63], v[66:67]
	v_mul_f64 v[66:67], v[184:185], s[36:37]
	v_fma_f64 v[122:123], s[50:51], v[166:167], v[74:75]
	v_add_f64 v[128:129], v[128:129], v[200:201]
	v_fma_f64 v[48:49], s[14:15], v[134:135], v[52:53]
	v_add_f64 v[50:51], v[50:51], v[62:63]
	v_mul_f64 v[62:63], v[182:183], s[14:15]
	v_fma_f64 v[70:71], s[56:57], v[162:163], v[66:67]
	v_add_f64 v[122:123], v[122:123], v[128:129]
	v_add_f64 v[50:51], v[48:49], v[50:51]
	v_fma_f64 v[48:49], s[42:43], v[160:161], v[62:63]
	v_add_f64 v[70:71], v[70:71], v[122:123]
	v_add_f64 v[48:49], v[48:49], v[70:71]
	v_fma_f64 v[70:71], v[148:149], s[26:27], -v[72:73]
	v_fma_f64 v[72:73], v[152:153], s[16:17], -v[120:121]
	;; [unrolled: 1-line block ×3, first 2 shown]
	v_add_f64 v[120:121], v[22:23], v[120:121]
	v_add_f64 v[72:73], v[72:73], v[120:121]
	v_fma_f64 v[68:69], v[144:145], s[28:29], -v[68:69]
	v_add_f64 v[70:71], v[70:71], v[72:73]
	v_fma_f64 v[64:65], v[140:141], s[6:7], -v[64:65]
	;; [unrolled: 2-line block ×5, first 2 shown]
	v_add_f64 v[54:55], v[54:55], v[60:61]
	v_fmac_f64_e32 v[210:211], s[22:23], v[178:179]
	v_add_f64 v[54:55], v[52:53], v[54:55]
	v_fmac_f64_e32 v[206:207], s[16:17], v[176:177]
	;; [unrolled: 2-line block ×3, first 2 shown]
	v_add_f64 v[52:53], v[206:207], v[52:53]
	s_mov_b32 s59, 0x3fe0d888
	s_mov_b32 s58, s24
	v_mul_f64 v[200:201], v[180:181], s[10:11]
	v_fmac_f64_e32 v[130:131], s[28:29], v[170:171]
	v_add_f64 v[52:53], v[202:203], v[52:53]
	v_mul_f64 v[128:129], v[172:173], s[58:59]
	v_fma_f64 v[202:203], s[16:17], v[156:157], v[200:201]
	v_mul_f64 v[218:219], v[196:197], s[10:11]
	v_fmac_f64_e32 v[126:127], s[48:49], v[168:169]
	v_add_f64 v[52:53], v[130:131], v[52:53]
	v_mul_f64 v[124:125], v[164:165], s[50:51]
	v_fma_f64 v[130:131], s[28:29], v[152:153], v[128:129]
	v_add_f64 v[202:203], v[22:23], v[202:203]
	v_mul_f64 v[214:215], v[194:195], s[58:59]
	v_fma_f64 v[220:221], v[178:179], s[16:17], -v[218:219]
	v_add_f64 v[52:53], v[126:127], v[52:53]
	v_mul_f64 v[120:121], v[158:159], s[42:43]
	v_fma_f64 v[126:127], s[20:21], v[148:149], v[124:125]
	v_add_f64 v[130:131], v[130:131], v[202:203]
	v_mul_f64 v[210:211], v[192:193], s[50:51]
	v_fma_f64 v[216:217], v[176:177], s[28:29], -v[214:215]
	v_add_f64 v[220:221], v[20:21], v[220:221]
	v_fmac_f64_e32 v[74:75], s[54:55], v[166:167]
	v_mul_f64 v[72:73], v[154:155], s[30:31]
	v_fma_f64 v[122:123], s[14:15], v[144:145], v[120:121]
	v_add_f64 v[126:127], v[126:127], v[130:131]
	v_mul_f64 v[206:207], v[190:191], s[42:43]
	v_fma_f64 v[212:213], v[174:175], s[20:21], -v[210:211]
	v_add_f64 v[216:217], v[216:217], v[220:221]
	v_fmac_f64_e32 v[66:67], s[30:31], v[162:163]
	v_add_f64 v[52:53], v[74:75], v[52:53]
	v_mul_f64 v[68:69], v[150:151], s[48:49]
	v_fma_f64 v[74:75], s[36:37], v[140:141], v[72:73]
	v_add_f64 v[122:123], v[122:123], v[126:127]
	v_mul_f64 v[202:203], v[188:189], s[36:37]
	v_fma_f64 v[208:209], v[170:171], s[14:15], -v[206:207]
	v_add_f64 v[212:213], v[212:213], v[216:217]
	v_fmac_f64_e32 v[62:63], s[34:35], v[160:161]
	v_add_f64 v[52:53], v[66:67], v[52:53]
	v_mul_f64 v[66:67], v[146:147], s[52:53]
	v_fma_f64 v[70:71], s[6:7], v[138:139], v[68:69]
	v_add_f64 v[74:75], v[74:75], v[122:123]
	v_mul_f64 v[126:127], v[186:187], s[6:7]
	v_fma_f64 v[204:205], s[56:57], v[168:169], v[202:203]
	v_add_f64 v[208:209], v[208:209], v[212:213]
	v_add_f64 v[52:53], v[62:63], v[52:53]
	v_mul_f64 v[64:65], v[142:143], s[18:19]
	v_fma_f64 v[62:63], s[26:27], v[136:137], v[66:67]
	v_add_f64 v[70:71], v[70:71], v[74:75]
	v_mul_f64 v[74:75], v[184:185], s[26:27]
	v_fma_f64 v[130:131], s[38:39], v[166:167], v[126:127]
	v_add_f64 v[204:205], v[204:205], v[208:209]
	v_fma_f64 v[60:61], s[22:23], v[134:135], v[64:65]
	v_add_f64 v[62:63], v[62:63], v[70:71]
	v_mul_f64 v[70:71], v[182:183], s[22:23]
	v_fma_f64 v[122:123], s[44:45], v[162:163], v[74:75]
	v_add_f64 v[130:131], v[130:131], v[204:205]
	v_add_f64 v[62:63], v[60:61], v[62:63]
	v_fma_f64 v[60:61], s[46:47], v[160:161], v[70:71]
	v_add_f64 v[122:123], v[122:123], v[130:131]
	v_add_f64 v[60:61], v[60:61], v[122:123]
	v_fma_f64 v[122:123], v[148:149], s[20:21], -v[124:125]
	v_fma_f64 v[124:125], v[152:153], s[28:29], -v[128:129]
	;; [unrolled: 1-line block ×3, first 2 shown]
	v_add_f64 v[128:129], v[22:23], v[128:129]
	v_add_f64 v[124:125], v[124:125], v[128:129]
	v_fma_f64 v[120:121], v[144:145], s[14:15], -v[120:121]
	v_add_f64 v[122:123], v[122:123], v[124:125]
	v_fma_f64 v[72:73], v[140:141], s[36:37], -v[72:73]
	;; [unrolled: 2-line block ×5, first 2 shown]
	v_add_f64 v[66:67], v[66:67], v[68:69]
	v_fmac_f64_e32 v[218:219], s[16:17], v[178:179]
	v_add_f64 v[66:67], v[64:65], v[66:67]
	v_fmac_f64_e32 v[214:215], s[28:29], v[176:177]
	v_add_f64 v[64:65], v[20:21], v[218:219]
	v_fmac_f64_e32 v[210:211], s[20:21], v[174:175]
	v_add_f64 v[64:65], v[214:215], v[64:65]
	v_mul_f64 v[208:209], v[180:181], s[38:39]
	v_fmac_f64_e32 v[206:207], s[14:15], v[170:171]
	v_add_f64 v[64:65], v[210:211], v[64:65]
	v_mul_f64 v[204:205], v[172:173], s[30:31]
	v_fma_f64 v[210:211], s[6:7], v[156:157], v[208:209]
	v_mul_f64 v[226:227], v[196:197], s[38:39]
	v_fmac_f64_e32 v[202:203], s[30:31], v[168:169]
	v_add_f64 v[64:65], v[206:207], v[64:65]
	v_mul_f64 v[200:201], v[164:165], s[40:41]
	v_fma_f64 v[206:207], s[36:37], v[152:153], v[204:205]
	v_add_f64 v[210:211], v[22:23], v[210:211]
	v_mul_f64 v[222:223], v[194:195], s[30:31]
	v_fma_f64 v[228:229], v[178:179], s[6:7], -v[226:227]
	v_add_f64 v[64:65], v[202:203], v[64:65]
	v_mul_f64 v[128:129], v[158:159], s[44:45]
	v_fma_f64 v[202:203], s[16:17], v[148:149], v[200:201]
	v_add_f64 v[206:207], v[206:207], v[210:211]
	v_mul_f64 v[218:219], v[192:193], s[40:41]
	v_fma_f64 v[224:225], v[176:177], s[36:37], -v[222:223]
	v_add_f64 v[228:229], v[20:21], v[228:229]
	v_fmac_f64_e32 v[126:127], s[48:49], v[166:167]
	v_mul_f64 v[124:125], v[154:155], s[42:43]
	v_fma_f64 v[130:131], s[26:27], v[144:145], v[128:129]
	v_add_f64 v[202:203], v[202:203], v[206:207]
	v_mul_f64 v[214:215], v[190:191], s[44:45]
	v_fma_f64 v[220:221], v[174:175], s[16:17], -v[218:219]
	v_add_f64 v[224:225], v[224:225], v[228:229]
	v_fmac_f64_e32 v[74:75], s[52:53], v[162:163]
	v_add_f64 v[64:65], v[126:127], v[64:65]
	v_mul_f64 v[120:121], v[150:151], s[24:25]
	v_fma_f64 v[126:127], s[14:15], v[140:141], v[124:125]
	v_add_f64 v[130:131], v[130:131], v[202:203]
	v_mul_f64 v[210:211], v[188:189], s[14:15]
	v_fma_f64 v[216:217], v[170:171], s[26:27], -v[214:215]
	v_add_f64 v[220:221], v[220:221], v[224:225]
	v_fmac_f64_e32 v[70:71], s[18:19], v[160:161]
	v_add_f64 v[64:65], v[74:75], v[64:65]
	v_mul_f64 v[74:75], v[146:147], s[46:47]
	v_fma_f64 v[122:123], s[28:29], v[138:139], v[120:121]
	v_add_f64 v[126:127], v[126:127], v[130:131]
	v_mul_f64 v[202:203], v[186:187], s[28:29]
	v_fma_f64 v[212:213], s[34:35], v[168:169], v[210:211]
	v_add_f64 v[216:217], v[216:217], v[220:221]
	v_add_f64 v[64:65], v[70:71], v[64:65]
	v_mul_f64 v[72:73], v[142:143], s[50:51]
	v_fma_f64 v[70:71], s[22:23], v[136:137], v[74:75]
	v_add_f64 v[122:123], v[122:123], v[126:127]
	v_mul_f64 v[126:127], v[184:185], s[22:23]
	v_fma_f64 v[206:207], s[58:59], v[166:167], v[202:203]
	v_add_f64 v[212:213], v[212:213], v[216:217]
	v_fma_f64 v[68:69], s[20:21], v[134:135], v[72:73]
	v_add_f64 v[70:71], v[70:71], v[122:123]
	v_mul_f64 v[122:123], v[182:183], s[20:21]
	v_fma_f64 v[130:131], s[18:19], v[162:163], v[126:127]
	v_add_f64 v[206:207], v[206:207], v[212:213]
	v_add_f64 v[70:71], v[68:69], v[70:71]
	v_fma_f64 v[68:69], s[54:55], v[160:161], v[122:123]
	v_add_f64 v[130:131], v[130:131], v[206:207]
	v_add_f64 v[68:69], v[68:69], v[130:131]
	v_fma_f64 v[130:131], v[148:149], s[16:17], -v[200:201]
	v_fma_f64 v[200:201], v[152:153], s[36:37], -v[204:205]
	;; [unrolled: 1-line block ×3, first 2 shown]
	v_add_f64 v[204:205], v[22:23], v[204:205]
	v_add_f64 v[200:201], v[200:201], v[204:205]
	v_fma_f64 v[128:129], v[144:145], s[26:27], -v[128:129]
	v_add_f64 v[130:131], v[130:131], v[200:201]
	v_fma_f64 v[124:125], v[140:141], s[14:15], -v[124:125]
	v_add_f64 v[128:129], v[128:129], v[130:131]
	v_fma_f64 v[120:121], v[138:139], s[28:29], -v[120:121]
	v_add_f64 v[124:125], v[124:125], v[128:129]
	v_fma_f64 v[74:75], v[136:137], s[22:23], -v[74:75]
	v_add_f64 v[120:121], v[120:121], v[124:125]
	v_fma_f64 v[72:73], v[134:135], s[20:21], -v[72:73]
	v_add_f64 v[74:75], v[74:75], v[120:121]
	v_fmac_f64_e32 v[226:227], s[6:7], v[178:179]
	v_add_f64 v[74:75], v[72:73], v[74:75]
	v_fmac_f64_e32 v[222:223], s[36:37], v[176:177]
	;; [unrolled: 2-line block ×3, first 2 shown]
	v_add_f64 v[72:73], v[222:223], v[72:73]
	v_mul_f64 v[216:217], v[180:181], s[42:43]
	v_fmac_f64_e32 v[214:215], s[26:27], v[170:171]
	v_add_f64 v[72:73], v[218:219], v[72:73]
	v_mul_f64 v[212:213], v[172:173], s[18:19]
	v_fma_f64 v[218:219], s[14:15], v[156:157], v[216:217]
	v_mul_f64 v[234:235], v[196:197], s[42:43]
	v_fmac_f64_e32 v[210:211], s[42:43], v[168:169]
	v_add_f64 v[72:73], v[214:215], v[72:73]
	v_mul_f64 v[208:209], v[164:165], s[56:57]
	v_fma_f64 v[214:215], s[22:23], v[152:153], v[212:213]
	v_add_f64 v[218:219], v[22:23], v[218:219]
	v_mul_f64 v[230:231], v[194:195], s[18:19]
	v_fma_f64 v[236:237], v[178:179], s[14:15], -v[234:235]
	v_add_f64 v[72:73], v[210:211], v[72:73]
	v_mul_f64 v[204:205], v[158:159], s[40:41]
	v_fma_f64 v[210:211], s[36:37], v[148:149], v[208:209]
	v_add_f64 v[214:215], v[214:215], v[218:219]
	v_mul_f64 v[226:227], v[192:193], s[56:57]
	v_fma_f64 v[232:233], v[176:177], s[22:23], -v[230:231]
	v_add_f64 v[236:237], v[20:21], v[236:237]
	v_fmac_f64_e32 v[202:203], s[24:25], v[166:167]
	v_mul_f64 v[200:201], v[154:155], s[50:51]
	v_fma_f64 v[206:207], s[16:17], v[144:145], v[204:205]
	v_add_f64 v[210:211], v[210:211], v[214:215]
	v_mul_f64 v[222:223], v[190:191], s[40:41]
	v_fma_f64 v[228:229], v[174:175], s[36:37], -v[226:227]
	v_add_f64 v[232:233], v[232:233], v[236:237]
	v_fmac_f64_e32 v[126:127], s[46:47], v[162:163]
	v_add_f64 v[72:73], v[202:203], v[72:73]
	v_mul_f64 v[128:129], v[150:151], s[52:53]
	v_fma_f64 v[202:203], s[20:21], v[140:141], v[200:201]
	v_add_f64 v[206:207], v[206:207], v[210:211]
	v_mul_f64 v[218:219], v[188:189], s[20:21]
	v_fma_f64 v[224:225], v[170:171], s[16:17], -v[222:223]
	v_add_f64 v[228:229], v[228:229], v[232:233]
	v_fmac_f64_e32 v[122:123], s[50:51], v[160:161]
	v_add_f64 v[72:73], v[126:127], v[72:73]
	v_mul_f64 v[126:127], v[146:147], s[38:39]
	v_fma_f64 v[130:131], s[26:27], v[138:139], v[128:129]
	v_add_f64 v[202:203], v[202:203], v[206:207]
	v_mul_f64 v[210:211], v[186:187], s[26:27]
	v_fma_f64 v[220:221], s[54:55], v[168:169], v[218:219]
	v_add_f64 v[224:225], v[224:225], v[228:229]
	v_add_f64 v[72:73], v[122:123], v[72:73]
	v_mul_f64 v[124:125], v[142:143], s[24:25]
	v_fma_f64 v[122:123], s[6:7], v[136:137], v[126:127]
	v_add_f64 v[130:131], v[130:131], v[202:203]
	v_mul_f64 v[206:207], v[184:185], s[6:7]
	v_fma_f64 v[214:215], s[44:45], v[166:167], v[210:211]
	v_add_f64 v[220:221], v[220:221], v[224:225]
	v_fma_f64 v[120:121], s[28:29], v[134:135], v[124:125]
	v_add_f64 v[122:123], v[122:123], v[130:131]
	v_mul_f64 v[202:203], v[182:183], s[28:29]
	v_fma_f64 v[130:131], s[48:49], v[162:163], v[206:207]
	v_add_f64 v[214:215], v[214:215], v[220:221]
	v_add_f64 v[122:123], v[120:121], v[122:123]
	v_fma_f64 v[120:121], s[58:59], v[160:161], v[202:203]
	v_add_f64 v[130:131], v[130:131], v[214:215]
	v_add_f64 v[120:121], v[120:121], v[130:131]
	v_fma_f64 v[130:131], v[140:141], s[20:21], -v[200:201]
	v_fma_f64 v[200:201], v[144:145], s[16:17], -v[204:205]
	;; [unrolled: 1-line block ×5, first 2 shown]
	v_add_f64 v[212:213], v[22:23], v[212:213]
	v_add_f64 v[208:209], v[208:209], v[212:213]
	;; [unrolled: 1-line block ×4, first 2 shown]
	v_fma_f64 v[128:129], v[138:139], s[26:27], -v[128:129]
	v_add_f64 v[130:131], v[130:131], v[200:201]
	v_fma_f64 v[126:127], v[136:137], s[6:7], -v[126:127]
	v_add_f64 v[128:129], v[128:129], v[130:131]
	;; [unrolled: 2-line block ×3, first 2 shown]
	v_fmac_f64_e32 v[234:235], s[14:15], v[178:179]
	v_add_f64 v[130:131], v[124:125], v[126:127]
	v_fmac_f64_e32 v[230:231], s[22:23], v[176:177]
	v_add_f64 v[124:125], v[20:21], v[234:235]
	;; [unrolled: 2-line block ×3, first 2 shown]
	v_mul_f64 v[224:225], v[180:181], s[54:55]
	v_fmac_f64_e32 v[222:223], s[16:17], v[170:171]
	v_add_f64 v[124:125], v[226:227], v[124:125]
	v_mul_f64 v[220:221], v[172:173], s[38:39]
	v_fma_f64 v[226:227], s[20:21], v[156:157], v[224:225]
	v_mul_f64 v[242:243], v[196:197], s[54:55]
	v_fmac_f64_e32 v[218:219], s[50:51], v[168:169]
	v_add_f64 v[124:125], v[222:223], v[124:125]
	v_mul_f64 v[216:217], v[164:165], s[18:19]
	v_fma_f64 v[222:223], s[6:7], v[152:153], v[220:221]
	v_add_f64 v[226:227], v[22:23], v[226:227]
	v_mul_f64 v[238:239], v[194:195], s[38:39]
	v_fma_f64 v[244:245], v[178:179], s[20:21], -v[242:243]
	v_fmac_f64_e32 v[210:211], s[52:53], v[166:167]
	v_add_f64 v[124:125], v[218:219], v[124:125]
	v_mul_f64 v[212:213], v[158:159], s[30:31]
	v_fma_f64 v[218:219], s[22:23], v[148:149], v[216:217]
	v_add_f64 v[222:223], v[222:223], v[226:227]
	v_mul_f64 v[234:235], v[192:193], s[18:19]
	v_fma_f64 v[240:241], v[176:177], s[6:7], -v[238:239]
	v_add_f64 v[244:245], v[20:21], v[244:245]
	v_fmac_f64_e32 v[206:207], s[38:39], v[162:163]
	v_add_f64 v[124:125], v[210:211], v[124:125]
	v_mul_f64 v[208:209], v[154:155], s[58:59]
	v_fma_f64 v[214:215], s[36:37], v[144:145], v[212:213]
	v_add_f64 v[218:219], v[218:219], v[222:223]
	v_mul_f64 v[230:231], v[190:191], s[30:31]
	v_fma_f64 v[236:237], v[174:175], s[22:23], -v[234:235]
	v_add_f64 v[240:241], v[240:241], v[244:245]
	;; [unrolled: 8-line block ×3, first 2 shown]
	v_add_f64 v[128:129], v[202:203], v[124:125]
	v_mul_f64 v[202:203], v[146:147], s[34:35]
	v_fma_f64 v[206:207], s[16:17], v[138:139], v[204:205]
	v_add_f64 v[210:211], v[210:211], v[214:215]
	v_mul_f64 v[218:219], v[186:187], s[16:17]
	v_fma_f64 v[228:229], s[24:25], v[168:169], v[226:227]
	;; [unrolled: 3-line block ×4, first 2 shown]
	v_add_f64 v[228:229], v[228:229], v[232:233]
	v_fma_f64 v[124:125], s[26:27], v[134:135], v[200:201]
	v_add_f64 v[126:127], v[126:127], v[206:207]
	v_mul_f64 v[206:207], v[182:183], s[26:27]
	v_fma_f64 v[214:215], s[42:43], v[162:163], v[210:211]
	v_add_f64 v[222:223], v[222:223], v[228:229]
	v_add_f64 v[126:127], v[124:125], v[126:127]
	v_fma_f64 v[124:125], s[52:53], v[160:161], v[206:207]
	v_add_f64 v[214:215], v[214:215], v[222:223]
	v_add_f64 v[124:125], v[124:125], v[214:215]
	v_fma_f64 v[214:215], v[148:149], s[22:23], -v[216:217]
	v_fma_f64 v[216:217], v[152:153], s[6:7], -v[220:221]
	;; [unrolled: 1-line block ×3, first 2 shown]
	v_add_f64 v[220:221], v[22:23], v[220:221]
	v_add_f64 v[216:217], v[216:217], v[220:221]
	v_fma_f64 v[212:213], v[144:145], s[36:37], -v[212:213]
	v_add_f64 v[214:215], v[214:215], v[216:217]
	v_fma_f64 v[208:209], v[140:141], s[28:29], -v[208:209]
	v_add_f64 v[212:213], v[212:213], v[214:215]
	v_fma_f64 v[204:205], v[138:139], s[16:17], -v[204:205]
	v_add_f64 v[208:209], v[208:209], v[212:213]
	v_fma_f64 v[202:203], v[136:137], s[14:15], -v[202:203]
	v_add_f64 v[204:205], v[204:205], v[208:209]
	v_fma_f64 v[200:201], v[134:135], s[26:27], -v[200:201]
	v_add_f64 v[202:203], v[202:203], v[204:205]
	v_fmac_f64_e32 v[242:243], s[20:21], v[178:179]
	v_add_f64 v[202:203], v[200:201], v[202:203]
	v_fmac_f64_e32 v[238:239], s[6:7], v[176:177]
	;; [unrolled: 2-line block ×7, first 2 shown]
	v_add_f64 v[200:201], v[218:219], v[200:201]
	v_mul_f64 v[142:143], v[142:143], s[30:31]
	v_mul_f64 v[158:159], v[158:159], s[38:39]
	;; [unrolled: 1-line block ×4, first 2 shown]
	v_add_f64 v[14:15], v[22:23], v[14:15]
	v_add_f64 v[12:13], v[20:21], v[12:13]
	v_fmac_f64_e32 v[206:207], s[44:45], v[160:161]
	v_add_f64 v[200:201], v[210:211], v[200:201]
	v_fma_f64 v[204:205], s[36:37], v[134:135], v[142:143]
	v_mul_f64 v[146:147], v[146:147], s[24:25]
	v_fma_f64 v[212:213], s[6:7], v[144:145], v[158:159]
	v_fma_f64 v[214:215], s[14:15], v[148:149], v[164:165]
	v_mul_f64 v[172:173], v[172:173], s[54:55]
	v_fma_f64 v[134:135], v[134:135], s[36:37], -v[142:143]
	v_fma_f64 v[142:143], v[144:145], s[6:7], -v[158:159]
	;; [unrolled: 1-line block ×4, first 2 shown]
	v_add_f64 v[14:15], v[18:19], v[14:15]
	v_add_f64 v[12:13], v[16:17], v[12:13]
	;; [unrolled: 1-line block ×3, first 2 shown]
	v_fma_f64 v[206:207], s[28:29], v[136:137], v[146:147]
	v_fma_f64 v[136:137], v[136:137], s[28:29], -v[146:147]
	v_fma_f64 v[146:147], v[152:153], s[20:21], -v[172:173]
	v_add_f64 v[148:149], v[22:23], v[148:149]
	v_add_f64 v[14:15], v[26:27], v[14:15]
	;; [unrolled: 1-line block ×6, first 2 shown]
	v_mul_f64 v[154:155], v[154:155], s[10:11]
	v_add_f64 v[144:145], v[144:145], v[146:147]
	v_add_f64 v[14:15], v[90:91], v[14:15]
	;; [unrolled: 1-line block ×3, first 2 shown]
	v_mul_f64 v[150:151], v[150:151], s[18:19]
	v_fma_f64 v[210:211], s[16:17], v[140:141], v[154:155]
	v_fma_f64 v[140:141], v[140:141], s[16:17], -v[154:155]
	v_add_f64 v[142:143], v[142:143], v[144:145]
	v_add_f64 v[14:15], v[98:99], v[14:15]
	;; [unrolled: 1-line block ×3, first 2 shown]
	v_fma_f64 v[208:209], s[22:23], v[138:139], v[150:151]
	v_fma_f64 v[138:139], v[138:139], s[22:23], -v[150:151]
	v_add_f64 v[140:141], v[140:141], v[142:143]
	v_add_f64 v[14:15], v[106:107], v[14:15]
	;; [unrolled: 1-line block ×3, first 2 shown]
	v_fma_f64 v[218:219], s[26:27], v[156:157], v[180:181]
	v_mul_f64 v[196:197], v[196:197], s[52:53]
	v_add_f64 v[138:139], v[138:139], v[140:141]
	v_add_f64 v[14:15], v[114:115], v[14:15]
	v_add_f64 v[12:13], v[112:113], v[12:13]
	v_fma_f64 v[216:217], s[20:21], v[152:153], v[172:173]
	v_add_f64 v[218:219], v[22:23], v[218:219]
	v_mul_f64 v[194:195], v[194:195], s[54:55]
	v_fma_f64 v[220:221], v[178:179], s[26:27], -v[196:197]
	v_add_f64 v[136:137], v[136:137], v[138:139]
	v_fmac_f64_e32 v[196:197], s[26:27], v[178:179]
	v_add_f64 v[14:15], v[118:119], v[14:15]
	v_add_f64 v[12:13], v[116:117], v[12:13]
	;; [unrolled: 1-line block ×3, first 2 shown]
	v_mul_f64 v[192:193], v[192:193], s[42:43]
	v_fma_f64 v[218:219], v[176:177], s[20:21], -v[194:195]
	v_add_f64 v[220:221], v[20:21], v[220:221]
	v_add_f64 v[136:137], v[134:135], v[136:137]
	v_fmac_f64_e32 v[194:195], s[20:21], v[176:177]
	v_add_f64 v[134:135], v[20:21], v[196:197]
	v_add_f64 v[14:15], v[110:111], v[14:15]
	;; [unrolled: 1-line block ×4, first 2 shown]
	v_mul_f64 v[190:191], v[190:191], s[38:39]
	v_fma_f64 v[216:217], v[174:175], s[14:15], -v[192:193]
	v_add_f64 v[218:219], v[218:219], v[220:221]
	v_fmac_f64_e32 v[192:193], s[14:15], v[174:175]
	v_add_f64 v[134:135], v[194:195], v[134:135]
	v_add_f64 v[14:15], v[102:103], v[14:15]
	;; [unrolled: 1-line block ×4, first 2 shown]
	v_mul_f64 v[188:189], v[188:189], s[16:17]
	v_fma_f64 v[214:215], v[170:171], s[6:7], -v[190:191]
	v_add_f64 v[216:217], v[216:217], v[218:219]
	v_fmac_f64_e32 v[190:191], s[6:7], v[170:171]
	v_add_f64 v[134:135], v[192:193], v[134:135]
	v_add_f64 v[14:15], v[94:95], v[14:15]
	v_add_f64 v[12:13], v[92:93], v[12:13]
	v_add_f64 v[210:211], v[210:211], v[212:213]
	v_mul_f64 v[186:187], v[186:187], s[22:23]
	v_fma_f64 v[212:213], s[40:41], v[168:169], v[188:189]
	v_add_f64 v[214:215], v[214:215], v[216:217]
	v_fmac_f64_e32 v[188:189], s[10:11], v[168:169]
	v_add_f64 v[134:135], v[190:191], v[134:135]
	v_add_f64 v[14:15], v[86:87], v[14:15]
	v_add_f64 v[12:13], v[84:85], v[12:13]
	v_add_f64 v[208:209], v[208:209], v[210:211]
	v_mul_f64 v[184:185], v[184:185], s[28:29]
	v_fma_f64 v[210:211], s[46:47], v[166:167], v[186:187]
	;; [unrolled: 8-line block ×3, first 2 shown]
	v_add_f64 v[210:211], v[210:211], v[212:213]
	v_fmac_f64_e32 v[184:185], s[24:25], v[162:163]
	v_add_f64 v[134:135], v[186:187], v[134:135]
	v_add_f64 v[14:15], v[58:59], v[14:15]
	;; [unrolled: 1-line block ×3, first 2 shown]
	v_accvgpr_read_b32 v16, a16
	v_add_f64 v[206:207], v[204:205], v[206:207]
	v_fma_f64 v[204:205], s[56:57], v[160:161], v[182:183]
	v_add_f64 v[208:209], v[208:209], v[210:211]
	v_fmac_f64_e32 v[182:183], s[30:31], v[160:161]
	v_add_f64 v[134:135], v[184:185], v[134:135]
	v_add_f64 v[14:15], v[42:43], v[14:15]
	;; [unrolled: 1-line block ×3, first 2 shown]
	v_lshl_add_u32 v16, v250, 4, v16
	v_add_f64 v[204:205], v[204:205], v[208:209]
	v_add_f64 v[134:135], v[182:183], v[134:135]
	ds_write_b128 v16, v[12:15]
	ds_write_b128 v16, v[134:137] offset:16
	ds_write_b128 v16, v[200:203] offset:32
	ds_write_b128 v16, v[128:131] offset:48
	ds_write_b128 v16, v[72:75] offset:64
	ds_write_b128 v16, v[64:67] offset:80
	ds_write_b128 v16, v[52:55] offset:96
	ds_write_b128 v16, v[44:47] offset:112
	ds_write_b128 v16, v[32:35] offset:128
	ds_write_b128 v16, v[28:31] offset:144
	ds_write_b128 v16, v[36:39] offset:160
	ds_write_b128 v16, v[48:51] offset:176
	ds_write_b128 v16, v[60:63] offset:192
	ds_write_b128 v16, v[68:71] offset:208
	ds_write_b128 v16, v[120:123] offset:224
	ds_write_b128 v16, v[124:127] offset:240
	ds_write_b128 v16, v[204:207] offset:256
.LBB0_13:
	s_or_b64 exec, exec, s[4:5]
	s_waitcnt lgkmcnt(0)
	s_barrier
	ds_read_b128 v[12:15], v199 offset:272
	ds_read_b128 v[16:19], v199
	ds_read_b128 v[20:23], v199 offset:544
	ds_read_b128 v[24:27], v199 offset:816
	s_waitcnt lgkmcnt(3)
	v_mul_f64 v[28:29], v[10:11], v[14:15]
	v_mul_f64 v[10:11], v[10:11], v[12:13]
	v_fmac_f64_e32 v[28:29], v[8:9], v[12:13]
	v_fma_f64 v[8:9], v[8:9], v[14:15], -v[10:11]
	s_waitcnt lgkmcnt(1)
	v_mul_f64 v[10:11], v[6:7], v[22:23]
	v_mul_f64 v[6:7], v[6:7], v[20:21]
	v_fmac_f64_e32 v[10:11], v[4:5], v[20:21]
	v_fma_f64 v[4:5], v[4:5], v[22:23], -v[6:7]
	;; [unrolled: 5-line block ×3, first 2 shown]
	v_add_f64 v[12:13], v[16:17], -v[10:11]
	v_add_f64 v[14:15], v[18:19], -v[4:5]
	v_fma_f64 v[4:5], v[16:17], 2.0, -v[12:13]
	v_fma_f64 v[10:11], v[18:19], 2.0, -v[14:15]
	v_add_f64 v[16:17], v[28:29], -v[6:7]
	v_add_f64 v[18:19], v[8:9], -v[0:1]
	v_fma_f64 v[0:1], v[28:29], 2.0, -v[16:17]
	v_fma_f64 v[2:3], v[8:9], 2.0, -v[18:19]
	;; [unrolled: 4-line block ×3, first 2 shown]
	v_add_f64 v[8:9], v[12:13], v[18:19]
	v_add_f64 v[10:11], v[14:15], -v[16:17]
	v_fma_f64 v[12:13], v[12:13], 2.0, -v[8:9]
	v_fma_f64 v[14:15], v[14:15], 2.0, -v[10:11]
	ds_write_b128 v198, v[4:7]
	ds_write_b128 v198, v[12:15] offset:272
	ds_write_b128 v198, v[0:3] offset:544
	ds_write_b128 v198, v[8:11] offset:816
	s_waitcnt lgkmcnt(0)
	s_barrier
	s_and_b64 exec, exec, vcc
	s_cbranch_execz .LBB0_15
; %bb.14:
	global_load_dwordx4 v[2:5], v254, s[8:9]
	v_accvgpr_read_b32 v6, a15
	v_mad_u64_u32 v[10:11], s[4:5], s2, v132, 0
	ds_read_b128 v[6:9], v6
	v_mad_u64_u32 v[12:13], s[6:7], s0, v133, 0
	v_mov_b32_e32 v14, v11
	v_mov_b32_e32 v16, v13
	v_mad_u64_u32 v[14:15], s[2:3], s3, v132, v[14:15]
	v_mov_b32_e32 v0, s12
	v_mov_b32_e32 v1, s13
	v_mad_u64_u32 v[16:17], s[2:3], s1, v133, v[16:17]
	v_mov_b32_e32 v11, v14
	v_mov_b32_e32 v13, v16
	v_lshl_add_u64 v[0:1], v[10:11], 4, v[0:1]
	s_mov_b32 s4, 0x1e1e1e1e
	v_lshl_add_u64 v[10:11], v[12:13], 4, v[0:1]
	s_mov_b32 s5, 0x3f8e1e1e
	v_accvgpr_read_b32 v17, a14
	v_mad_u64_u32 v[14:15], s[2:3], s0, v17, 0
	v_mov_b32_e32 v16, v15
	v_mad_u64_u32 v[16:17], s[2:3], s1, v17, v[16:17]
	v_mov_b32_e32 v15, v16
	v_lshl_add_u64 v[14:15], v[14:15], 4, v[0:1]
	s_waitcnt vmcnt(0) lgkmcnt(0)
	v_mul_f64 v[12:13], v[8:9], v[4:5]
	v_mul_f64 v[4:5], v[6:7], v[4:5]
	v_fmac_f64_e32 v[12:13], v[6:7], v[2:3]
	v_fma_f64 v[4:5], v[2:3], v[8:9], -v[4:5]
	v_mul_f64 v[2:3], v[12:13], s[4:5]
	v_mul_f64 v[4:5], v[4:5], s[4:5]
	global_store_dwordx4 v[10:11], v[2:5], off
	global_load_dwordx4 v[2:5], v254, s[8:9] offset:64
	ds_read_b128 v[6:9], v198 offset:64
	ds_read_b128 v[10:13], v198 offset:128
	s_waitcnt vmcnt(0) lgkmcnt(1)
	v_mul_f64 v[16:17], v[8:9], v[4:5]
	v_mul_f64 v[4:5], v[6:7], v[4:5]
	v_fmac_f64_e32 v[16:17], v[6:7], v[2:3]
	v_fma_f64 v[4:5], v[2:3], v[8:9], -v[4:5]
	v_mul_f64 v[2:3], v[16:17], s[4:5]
	v_mul_f64 v[4:5], v[4:5], s[4:5]
	global_store_dwordx4 v[14:15], v[2:5], off
	global_load_dwordx4 v[2:5], v254, s[8:9] offset:128
	v_accvgpr_read_b32 v9, a13
	v_mad_u64_u32 v[6:7], s[2:3], s0, v9, 0
	v_mov_b32_e32 v8, v7
	v_mad_u64_u32 v[8:9], s[2:3], s1, v9, v[8:9]
	v_mov_b32_e32 v7, v8
	v_lshl_add_u64 v[6:7], v[6:7], 4, v[0:1]
	v_accvgpr_read_b32 v17, a12
	v_mad_u64_u32 v[14:15], s[2:3], s0, v17, 0
	v_mov_b32_e32 v16, v15
	v_mad_u64_u32 v[16:17], s[2:3], s1, v17, v[16:17]
	v_mov_b32_e32 v15, v16
	v_lshl_add_u64 v[14:15], v[14:15], 4, v[0:1]
	s_waitcnt vmcnt(0) lgkmcnt(0)
	v_mul_f64 v[8:9], v[12:13], v[4:5]
	v_mul_f64 v[4:5], v[10:11], v[4:5]
	v_fmac_f64_e32 v[8:9], v[10:11], v[2:3]
	v_fma_f64 v[4:5], v[2:3], v[12:13], -v[4:5]
	v_mul_f64 v[2:3], v[8:9], s[4:5]
	v_mul_f64 v[4:5], v[4:5], s[4:5]
	global_store_dwordx4 v[6:7], v[2:5], off
	global_load_dwordx4 v[2:5], v254, s[8:9] offset:192
	ds_read_b128 v[6:9], v198 offset:192
	ds_read_b128 v[10:13], v198 offset:256
	s_waitcnt vmcnt(0) lgkmcnt(1)
	v_mul_f64 v[16:17], v[8:9], v[4:5]
	v_mul_f64 v[4:5], v[6:7], v[4:5]
	v_fmac_f64_e32 v[16:17], v[6:7], v[2:3]
	v_fma_f64 v[4:5], v[2:3], v[8:9], -v[4:5]
	v_mul_f64 v[2:3], v[16:17], s[4:5]
	v_mul_f64 v[4:5], v[4:5], s[4:5]
	global_store_dwordx4 v[14:15], v[2:5], off
	global_load_dwordx4 v[2:5], v254, s[8:9] offset:256
	v_accvgpr_read_b32 v9, a11
	v_mad_u64_u32 v[6:7], s[2:3], s0, v9, 0
	v_mov_b32_e32 v8, v7
	v_mad_u64_u32 v[8:9], s[2:3], s1, v9, v[8:9]
	v_mov_b32_e32 v7, v8
	v_lshl_add_u64 v[6:7], v[6:7], 4, v[0:1]
	;; [unrolled: 32-line block ×7, first 2 shown]
	v_accvgpr_read_b32 v17, a0
	v_mad_u64_u32 v[14:15], s[2:3], s0, v17, 0
	v_mov_b32_e32 v16, v15
	v_mad_u64_u32 v[16:17], s[2:3], s1, v17, v[16:17]
	v_mov_b32_e32 v15, v16
	v_lshl_add_u64 v[14:15], v[14:15], 4, v[0:1]
	s_waitcnt vmcnt(0) lgkmcnt(0)
	v_mul_f64 v[8:9], v[12:13], v[4:5]
	v_mul_f64 v[4:5], v[10:11], v[4:5]
	v_fmac_f64_e32 v[8:9], v[10:11], v[2:3]
	v_fma_f64 v[4:5], v[2:3], v[12:13], -v[4:5]
	v_mul_f64 v[2:3], v[8:9], s[4:5]
	v_mul_f64 v[4:5], v[4:5], s[4:5]
	global_store_dwordx4 v[6:7], v[2:5], off
	global_load_dwordx4 v[2:5], v254, s[8:9] offset:960
	ds_read_b128 v[6:9], v198 offset:960
	ds_read_b128 v[10:13], v198 offset:1024
	s_waitcnt vmcnt(0) lgkmcnt(1)
	v_mul_f64 v[16:17], v[8:9], v[4:5]
	v_mul_f64 v[4:5], v[6:7], v[4:5]
	v_fmac_f64_e32 v[16:17], v[6:7], v[2:3]
	v_fma_f64 v[4:5], v[2:3], v[8:9], -v[4:5]
	v_mul_f64 v[2:3], v[16:17], s[4:5]
	v_mul_f64 v[4:5], v[4:5], s[4:5]
	global_store_dwordx4 v[14:15], v[2:5], off
	global_load_dwordx4 v[2:5], v254, s[8:9] offset:1024
	v_or_b32_e32 v9, 64, v133
	v_mad_u64_u32 v[6:7], s[2:3], s0, v9, 0
	v_mov_b32_e32 v8, v7
	v_mad_u64_u32 v[8:9], s[0:1], s1, v9, v[8:9]
	v_mov_b32_e32 v7, v8
	v_lshl_add_u64 v[0:1], v[6:7], 4, v[0:1]
	s_waitcnt vmcnt(0) lgkmcnt(0)
	v_mul_f64 v[8:9], v[12:13], v[4:5]
	v_mul_f64 v[4:5], v[10:11], v[4:5]
	v_fmac_f64_e32 v[8:9], v[10:11], v[2:3]
	v_fma_f64 v[4:5], v[2:3], v[12:13], -v[4:5]
	v_mul_f64 v[2:3], v[8:9], s[4:5]
	v_mul_f64 v[4:5], v[4:5], s[4:5]
	global_store_dwordx4 v[0:1], v[2:5], off
.LBB0_15:
	s_endpgm
	.section	.rodata,"a",@progbits
	.p2align	6, 0x0
	.amdhsa_kernel bluestein_single_back_len68_dim1_dp_op_CI_CI
		.amdhsa_group_segment_fixed_size 16320
		.amdhsa_private_segment_fixed_size 0
		.amdhsa_kernarg_size 104
		.amdhsa_user_sgpr_count 2
		.amdhsa_user_sgpr_dispatch_ptr 0
		.amdhsa_user_sgpr_queue_ptr 0
		.amdhsa_user_sgpr_kernarg_segment_ptr 1
		.amdhsa_user_sgpr_dispatch_id 0
		.amdhsa_user_sgpr_kernarg_preload_length 0
		.amdhsa_user_sgpr_kernarg_preload_offset 0
		.amdhsa_user_sgpr_private_segment_size 0
		.amdhsa_uses_dynamic_stack 0
		.amdhsa_enable_private_segment 0
		.amdhsa_system_sgpr_workgroup_id_x 1
		.amdhsa_system_sgpr_workgroup_id_y 0
		.amdhsa_system_sgpr_workgroup_id_z 0
		.amdhsa_system_sgpr_workgroup_info 0
		.amdhsa_system_vgpr_workitem_id 0
		.amdhsa_next_free_vgpr 294
		.amdhsa_next_free_sgpr 60
		.amdhsa_accum_offset 256
		.amdhsa_reserve_vcc 1
		.amdhsa_float_round_mode_32 0
		.amdhsa_float_round_mode_16_64 0
		.amdhsa_float_denorm_mode_32 3
		.amdhsa_float_denorm_mode_16_64 3
		.amdhsa_dx10_clamp 1
		.amdhsa_ieee_mode 1
		.amdhsa_fp16_overflow 0
		.amdhsa_tg_split 0
		.amdhsa_exception_fp_ieee_invalid_op 0
		.amdhsa_exception_fp_denorm_src 0
		.amdhsa_exception_fp_ieee_div_zero 0
		.amdhsa_exception_fp_ieee_overflow 0
		.amdhsa_exception_fp_ieee_underflow 0
		.amdhsa_exception_fp_ieee_inexact 0
		.amdhsa_exception_int_div_zero 0
	.end_amdhsa_kernel
	.text
.Lfunc_end0:
	.size	bluestein_single_back_len68_dim1_dp_op_CI_CI, .Lfunc_end0-bluestein_single_back_len68_dim1_dp_op_CI_CI
                                        ; -- End function
	.section	.AMDGPU.csdata,"",@progbits
; Kernel info:
; codeLenInByte = 18596
; NumSgprs: 66
; NumVgprs: 256
; NumAgprs: 38
; TotalNumVgprs: 294
; ScratchSize: 0
; MemoryBound: 0
; FloatMode: 240
; IeeeMode: 1
; LDSByteSize: 16320 bytes/workgroup (compile time only)
; SGPRBlocks: 8
; VGPRBlocks: 36
; NumSGPRsForWavesPerEU: 66
; NumVGPRsForWavesPerEU: 294
; AccumOffset: 256
; Occupancy: 1
; WaveLimiterHint : 1
; COMPUTE_PGM_RSRC2:SCRATCH_EN: 0
; COMPUTE_PGM_RSRC2:USER_SGPR: 2
; COMPUTE_PGM_RSRC2:TRAP_HANDLER: 0
; COMPUTE_PGM_RSRC2:TGID_X_EN: 1
; COMPUTE_PGM_RSRC2:TGID_Y_EN: 0
; COMPUTE_PGM_RSRC2:TGID_Z_EN: 0
; COMPUTE_PGM_RSRC2:TIDIG_COMP_CNT: 0
; COMPUTE_PGM_RSRC3_GFX90A:ACCUM_OFFSET: 63
; COMPUTE_PGM_RSRC3_GFX90A:TG_SPLIT: 0
	.text
	.p2alignl 6, 3212836864
	.fill 256, 4, 3212836864
	.type	__hip_cuid_b52361497eeb1034,@object ; @__hip_cuid_b52361497eeb1034
	.section	.bss,"aw",@nobits
	.globl	__hip_cuid_b52361497eeb1034
__hip_cuid_b52361497eeb1034:
	.byte	0                               ; 0x0
	.size	__hip_cuid_b52361497eeb1034, 1

	.ident	"AMD clang version 19.0.0git (https://github.com/RadeonOpenCompute/llvm-project roc-6.4.0 25133 c7fe45cf4b819c5991fe208aaa96edf142730f1d)"
	.section	".note.GNU-stack","",@progbits
	.addrsig
	.addrsig_sym __hip_cuid_b52361497eeb1034
	.amdgpu_metadata
---
amdhsa.kernels:
  - .agpr_count:     38
    .args:
      - .actual_access:  read_only
        .address_space:  global
        .offset:         0
        .size:           8
        .value_kind:     global_buffer
      - .actual_access:  read_only
        .address_space:  global
        .offset:         8
        .size:           8
        .value_kind:     global_buffer
      - .actual_access:  read_only
        .address_space:  global
        .offset:         16
        .size:           8
        .value_kind:     global_buffer
      - .actual_access:  read_only
        .address_space:  global
        .offset:         24
        .size:           8
        .value_kind:     global_buffer
      - .actual_access:  read_only
        .address_space:  global
        .offset:         32
        .size:           8
        .value_kind:     global_buffer
      - .offset:         40
        .size:           8
        .value_kind:     by_value
      - .address_space:  global
        .offset:         48
        .size:           8
        .value_kind:     global_buffer
      - .address_space:  global
        .offset:         56
        .size:           8
        .value_kind:     global_buffer
      - .address_space:  global
        .offset:         64
        .size:           8
        .value_kind:     global_buffer
      - .address_space:  global
        .offset:         72
        .size:           8
        .value_kind:     global_buffer
      - .offset:         80
        .size:           4
        .value_kind:     by_value
      - .address_space:  global
        .offset:         88
        .size:           8
        .value_kind:     global_buffer
      - .address_space:  global
        .offset:         96
        .size:           8
        .value_kind:     global_buffer
    .group_segment_fixed_size: 16320
    .kernarg_segment_align: 8
    .kernarg_segment_size: 104
    .language:       OpenCL C
    .language_version:
      - 2
      - 0
    .max_flat_workgroup_size: 255
    .name:           bluestein_single_back_len68_dim1_dp_op_CI_CI
    .private_segment_fixed_size: 0
    .sgpr_count:     66
    .sgpr_spill_count: 0
    .symbol:         bluestein_single_back_len68_dim1_dp_op_CI_CI.kd
    .uniform_work_group_size: 1
    .uses_dynamic_stack: false
    .vgpr_count:     294
    .vgpr_spill_count: 0
    .wavefront_size: 64
amdhsa.target:   amdgcn-amd-amdhsa--gfx950
amdhsa.version:
  - 1
  - 2
...

	.end_amdgpu_metadata
